;; amdgpu-corpus repo=ROCm/aiter kind=harvested arch=n/a opt=n/a

/root/src/amdgpu-assembly/repos/ROCm__aiter/hsa/gfx942/fmha_v3_bwd/bwd_hd128_fp16_swa_a32_psskddv.co:	file format elf64-amdgpu

Disassembly of section .text:

0000000000003e00 <_ZN5aiter35fmha_bwd_hd128_fp16_swa_a32_psskddvE>:
	s_and_b32 s1, s1, 0xffff                                   // 000000003E00: 8601FF01 0000FFFF
	s_load_dwordx2 s[32:33], s[0:1], 0x0                       // 000000003E08: C0060800 00000000
	s_load_dwordx2 s[36:37], s[0:1], 0x10                      // 000000003E10: C0060900 00000010
	s_load_dwordx2 s[40:41], s[0:1], 0x20                      // 000000003E18: C0060A00 00000020
	s_load_dwordx2 s[8:9], s[0:1], 0x30                        // 000000003E20: C0060200 00000030
	s_load_dwordx2 s[12:13], s[0:1], 0x40                      // 000000003E28: C0060300 00000040
	s_load_dwordx2 s[16:17], s[0:1], 0x50                      // 000000003E30: C0060400 00000050
	s_load_dwordx2 s[20:21], s[0:1], 0x60                      // 000000003E38: C0060500 00000060
	s_load_dwordx2 s[24:25], s[0:1], 0x70                      // 000000003E40: C0060600 00000070
	s_load_dwordx2 s[28:29], s[0:1], 0x80                      // 000000003E48: C0060700 00000080
	s_load_dword s47, s[0:1], 0x90                             // 000000003E50: C0020BC0 00000090
	s_load_dword s48, s[0:1], 0xa0                             // 000000003E58: C0020C00 000000A0
	s_load_dword s49, s[0:1], 0xb0                             // 000000003E60: C0020C40 000000B0
	s_load_dword s74, s[0:1], 0xd0                             // 000000003E68: C0021280 000000D0
	s_load_dword s75, s[0:1], 0xe0                             // 000000003E70: C00212C0 000000E0
	s_load_dword s5, s[0:1], 0xf0                              // 000000003E78: C0020140 000000F0
	s_load_dword s44, s[0:1], 0x100                            // 000000003E80: C0020B00 00000100
	s_load_dword s84, s[0:1], 0x110                            // 000000003E88: C0021500 00000110
	s_load_dword s85, s[0:1], 0x120                            // 000000003E90: C0021540 00000120
	s_load_dword s6, s[0:1], 0x130                             // 000000003E98: C0020180 00000130
	s_load_dword s52, s[0:1], 0x140                            // 000000003EA0: C0020D00 00000140
	s_load_dword s50, s[0:1], 0x150                            // 000000003EA8: C0020C80 00000150
	s_load_dword s94, s[0:1], 0x160                            // 000000003EB0: C0021780 00000160
	s_load_dword s96, s[0:1], 0x180                            // 000000003EB8: C0021800 00000180
	s_load_dword s86, s[0:1], 0x190                            // 000000003EC0: C0021580 00000190
	s_load_dword s87, s[0:1], 0x1a0                            // 000000003EC8: C00215C0 000001A0
	s_load_dword s7, s[0:1], 0x1b0                             // 000000003ED0: C00201C0 000001B0
	s_load_dword s88, s[0:1], 0x1c0                            // 000000003ED8: C0021600 000001C0
	s_load_dword s89, s[0:1], 0x1d0                            // 000000003EE0: C0021640 000001D0
	s_load_dword s51, s[0:1], 0x1e0                            // 000000003EE8: C0020CC0 000001E0
	s_load_dword s90, s[0:1], 0x1f0                            // 000000003EF0: C0021680 000001F0
	s_load_dword s91, s[0:1], 0x200                            // 000000003EF8: C00216C0 00000200
	s_load_dword s92, s[0:1], 0x210                            // 000000003F00: C0021700 00000210
	s_load_dword s93, s[0:1], 0x220                            // 000000003F08: C0021740 00000220
	s_load_dword s53, s[0:1], 0x230                            // 000000003F10: C0020D40 00000230
	s_load_dword s97, s[0:1], 0x2a0                            // 000000003F18: C0021840 000002A0
	s_load_dword s98, s[0:1], 0x2b0                            // 000000003F20: C0021880 000002B0
	v_lshrrev_b32_e32 v1, 10, v0                               // 000000003F28: 2002008A
	v_lshrrev_b32_e32 v2, 10, v1                               // 000000003F2C: 2004028A
	v_and_b32_e32 v2, 0x3ff, v2                                // 000000003F30: 260404FF 000003FF
	v_and_b32_e32 v1, 0x3ff, v1                                // 000000003F38: 260202FF 000003FF
	v_and_b32_e32 v0, 0x3ff, v0                                // 000000003F40: 260000FF 000003FF
	v_lshrrev_b32_e32 v3, 6, v0                                // 000000003F48: 20060086
	v_and_b32_e32 v0, 63, v0                                   // 000000003F4C: 260000BF
	s_mov_b32 s2, s2                                           // 000000003F50: BE820002
	s_mov_b32 s3, s3                                           // 000000003F54: BE830003
	s_mov_b32 s4, s4                                           // 000000003F58: BE840004
	v_readfirstlane_b32 s46, v3                                // 000000003F5C: 7E5C0503
	s_waitcnt lgkmcnt(0)                                       // 000000003F60: BF8CC07F
	s_mov_b32 s11, 0x20000                                     // 000000003F64: BE8B00FF 00020000
	s_mov_b32 s15, 0x20000                                     // 000000003F6C: BE8F00FF 00020000
	s_mov_b32 s19, 0x20000                                     // 000000003F74: BE9300FF 00020000
	s_mov_b32 s23, 0x20000                                     // 000000003F7C: BE9700FF 00020000
	s_mov_b32 s27, 0x20000                                     // 000000003F84: BE9B00FF 00020000
	s_mov_b32 s31, 0x20000                                     // 000000003F8C: BE9F00FF 00020000
	s_mov_b32 s35, 0x20000                                     // 000000003F94: BEA300FF 00020000
	s_mov_b32 s39, 0x20000                                     // 000000003F9C: BEA700FF 00020000
	s_mov_b32 s43, 0x20000                                     // 000000003FA4: BEAB00FF 00020000
	s_and_b32 s9, s9, 0xffff                                   // 000000003FAC: 8609FF09 0000FFFF
	s_and_b32 s13, s13, 0xffff                                 // 000000003FB4: 860DFF0D 0000FFFF
	s_and_b32 s17, s17, 0xffff                                 // 000000003FBC: 8611FF11 0000FFFF
	s_and_b32 s21, s21, 0xffff                                 // 000000003FC4: 8615FF15 0000FFFF
	s_and_b32 s25, s25, 0xffff                                 // 000000003FCC: 8619FF19 0000FFFF
	s_and_b32 s29, s29, 0xffff                                 // 000000003FD4: 861DFF1D 0000FFFF
	s_and_b32 s33, s33, 0xffff                                 // 000000003FDC: 8621FF21 0000FFFF
	s_and_b32 s37, s37, 0xffff                                 // 000000003FE4: 8625FF25 0000FFFF
	s_and_b32 s41, s41, 0xffff                                 // 000000003FEC: 8629FF29 0000FFFF
	s_or_b32 s9, s9, 0x40000                                   // 000000003FF4: 8709FF09 00040000
	s_or_b32 s13, s13, 0x40000                                 // 000000003FFC: 870DFF0D 00040000
	s_or_b32 s17, s17, 0x40000                                 // 000000004004: 8711FF11 00040000
	s_or_b32 s21, s21, 0x40000                                 // 00000000400C: 8715FF15 00040000
	s_or_b32 s25, s25, 0x40000                                 // 000000004014: 8719FF19 00040000
	s_or_b32 s29, s29, 0x40000                                 // 00000000401C: 871DFF1D 00040000
	s_or_b32 s33, s33, 0x40000                                 // 000000004024: 8721FF21 00040000
	s_or_b32 s37, s37, 0x40000                                 // 00000000402C: 8725FF25 00040000
	s_or_b32 s41, s41, 0x40000                                 // 000000004034: 8729FF29 00040000
	v_accvgpr_write_b32 a255, 0                                // 00000000403C: D3D940FF 18000080
	v_mov_b32_e32 v251, 0                                      // 000000004044: 7FF60280
	s_mov_b32 s76, s8                                          // 000000004048: BECC0008
	s_mov_b32 s78, s12                                         // 00000000404C: BECE000C
	s_mov_b32 s80, s16                                         // 000000004050: BED00010
	s_mov_b32 s82, s20                                         // 000000004054: BED20014
	s_mov_b32 s77, s9                                          // 000000004058: BECD0009
	s_mov_b32 s79, s13                                         // 00000000405C: BECF000D
	s_mov_b32 s81, s17                                         // 000000004060: BED10011
	s_mov_b32 s83, s21                                         // 000000004064: BED30015
	s_mov_b32 s71, s3                                          // 000000004068: BEC70003
	v_cvt_f32_u32_e32 v28, s44                                 // 00000000406C: 7E380C2C
	s_sub_i32 s60, 0, s44                                      // 000000004070: 81BC2C80
	v_rcp_iflag_f32_e32 v28, v28                               // 000000004074: 7E38471C
	s_nop 0                                                    // 000000004078: BF800000
	v_mul_f32_e32 v28, 0x4f7ffffe, v28                         // 00000000407C: 0A3838FF 4F7FFFFE
	v_cvt_u32_f32_e32 v28, v28                                 // 000000004084: 7E380F1C
	v_mul_lo_u32 v29, s60, v28                                 // 000000004088: D285001D 0002383C
	v_mul_hi_u32 v29, v28, v29                                 // 000000004090: D286001D 00023B1C
	v_add_u32_e32 v28, v28, v29                                // 000000004098: 68383B1C
	v_mul_hi_u32 v28, s71, v28                                 // 00000000409C: D286001C 00023847
	v_mul_lo_u32 v29, v28, s44                                 // 0000000040A4: D285001D 0000591C
	v_sub_u32_e32 v31, s71, v29                                // 0000000040AC: 6A3E3A47
	v_add_u32_e32 v30, 1, v28                                  // 0000000040B0: 683C3881
	v_cmp_le_u32_e32 vcc, s44, v31                             // 0000000040B4: 7D963E2C
	v_subrev_u32_e32 v29, s44, v31                             // 0000000040B8: 6C3A3E2C
	s_nop 0                                                    // 0000000040BC: BF800000
	v_cndmask_b32_e32 v28, v28, v30, vcc                       // 0000000040C0: 00383D1C
	v_cndmask_b32_e32 v31, v31, v29, vcc                       // 0000000040C4: 003E3B1F
	v_add_u32_e32 v29, 1, v28                                  // 0000000040C8: 683A3881
	v_cmp_le_u32_e32 vcc, s44, v31                             // 0000000040CC: 7D963E2C
	s_nop 1                                                    // 0000000040D0: BF800001
	v_cndmask_b32_e32 v31, v28, v29, vcc                       // 0000000040D4: 003E3B1C
	s_nop 3                                                    // 0000000040D8: BF800003
	v_readfirstlane_b32 s45, v31                               // 0000000040DC: 7E5A051F
	s_nop 3                                                    // 0000000040E0: BF800003
	v_mov_b32_e32 v28, s47                                     // 0000000040E4: 7E38022F
	v_mul_f32_e32 v28, s48, v28                                // 0000000040E8: 0A383830
	s_mov_b32 s66, 0                                           // 0000000040EC: BEC20080
	s_mov_b32 s58, s49                                         // 0000000040F0: BEBA0031
	s_mov_b32 s59, 0                                           // 0000000040F4: BEBB0080
	v_mov_b32_e32 v151, 0xff800000                             // 0000000040F8: 7F2E02FF FF800000
	s_mov_b32 s63, 0x5040100                                   // 000000004100: BEBF00FF 05040100
	s_mov_b32 s64, 0x7060302                                   // 000000004108: BEC000FF 07060302
	v_readfirstlane_b32 s57, v28                               // 000000004110: 7E72051C
	v_mov_b32_e32 v30, 0x3020706                               // 000000004114: 7E3C02FF 03020706
	v_mov_b32_e32 v28, s63                                     // 00000000411C: 7E38023F
	v_and_b32_e32 v29, 1, v0                                   // 000000004120: 263A0081
	v_cmp_eq_u32_e32 vcc, 1, v29                               // 000000004124: 7D943A81
	s_mul_i32 s60, s94, 64                                     // 000000004128: 923CC05E
	s_mov_b32 s67, s60                                         // 00000000412C: BEC3003C
	v_cndmask_b32_e32 v15, v28, v30, vcc                       // 000000004130: 001E3D1C
	s_mul_i32 s68, 4, s5                                       // 000000004134: 92440584
	s_mul_i32 s95, 4, s51                                      // 000000004138: 925F3384
	s_mov_b32 s69, 16                                          // 00000000413C: BEC50090
	s_mul_i32 s60, s6, 0xc0                                    // 000000004140: 923CFF06 000000C0
	s_mul_i32 s60, s2, s60                                     // 000000004148: 923C3C02
	s_mul_i32 s61, s45, s84                                    // 00000000414C: 923D542D
	s_mul_i32 s62, s4, s85                                     // 000000004150: 923E5504
	s_add_u32 s54, s60, s61                                    // 000000004154: 80363D3C
	s_mul_i32 s60, s2, 0xc0                                    // 000000004158: 923CFF02 000000C0
	s_sub_i32 s60, s50, s60                                    // 000000004160: 81BC3C32
	s_mul_i32 s60, s6, s60                                     // 000000004164: 923C3C06
	s_lshr_b32 s60, s60, 2                                     // 000000004168: 8F3C823C
	s_mov_b32 s14, s60                                         // 00000000416C: BE8E003C
	s_add_u32 s12, s54, s78                                    // 000000004170: 800C4E36
	s_addc_u32 s13, 0, s79                                     // 000000004174: 820D4F80
	s_mul_hi_u32 s61, s4, s85                                  // 000000004178: 963D5504
	s_and_b32 s61, s61, 0xffff                                 // 00000000417C: 863DFF3D 0000FFFF
	s_add_u32 s12, s12, s62                                    // 000000004184: 800C3E0C
	s_addc_u32 s13, s13, s61                                   // 000000004188: 820D3D0D
	s_mul_i32 s60, s7, 0xc0                                    // 00000000418C: 923CFF07 000000C0
	s_mul_i32 s60, s2, s60                                     // 000000004194: 923C3C02
	s_mul_i32 s61, s45, s86                                    // 000000004198: 923D562D
	s_mul_i32 s62, s4, s87                                     // 00000000419C: 923E5704
	s_add_u32 s54, s60, s61                                    // 0000000041A0: 80363D3C
	s_mul_i32 s60, s2, 0xc0                                    // 0000000041A4: 923CFF02 000000C0
	s_sub_i32 s60, s50, s60                                    // 0000000041AC: 81BC3C32
	s_mul_i32 s60, s7, s60                                     // 0000000041B0: 923C3C07
	s_lshr_b32 s60, s60, 2                                     // 0000000041B4: 8F3C823C
	s_mov_b32 s18, s60                                         // 0000000041B8: BE92003C
	s_add_u32 s16, s54, s80                                    // 0000000041BC: 80105036
	s_addc_u32 s17, 0, s81                                     // 0000000041C0: 82115180
	s_mul_hi_u32 s61, s4, s87                                  // 0000000041C4: 963D5704
	s_and_b32 s61, s61, 0xffff                                 // 0000000041C8: 863DFF3D 0000FFFF
	s_add_u32 s16, s16, s62                                    // 0000000041D0: 80103E10
	s_addc_u32 s17, s17, s61                                   // 0000000041D4: 82113D11
	s_mul_i32 s80, s2, 0xc0                                    // 0000000041D8: 9250FF02 000000C0
	s_sub_i32 s61, s80, s97                                    // 0000000041E0: 81BD6150
	s_cmp_ge_i32 s61, 0                                        // 0000000041E4: BF03803D
	s_cselect_b32 s61, s61, 0                                  // 0000000041E8: 853D803D
	s_cmp_lt_i32 s61, s49                                      // 0000000041EC: BF04313D
	s_cselect_b32 s61, s61, s49                                // 0000000041F0: 853D313D
	s_and_b32 s59, s61, -16                                    // 0000000041F4: 863BD03D
	s_add_i32 s60, s80, 0xc0                                   // 0000000041F8: 813CFF50 000000C0
	s_add_i32 s61, s60, s98                                    // 000000004200: 813D623C
	s_cmp_ge_i32 s61, 0                                        // 000000004204: BF03803D
	s_cselect_b32 s61, s61, 0                                  // 000000004208: 853D803D
	s_cmp_lt_i32 s61, s49                                      // 00000000420C: BF04313D
	s_cselect_b32 s61, s61, s49                                // 000000004210: 853D313D
	s_mov_b32 s58, s61                                         // 000000004214: BEBA003D
	s_add_u32 s99, 16, s59                                     // 000000004218: 80633B90
	s_mul_i32 s61, s3, s74                                     // 00000000421C: 923D4A03
	s_mul_i32 s62, s4, s75                                     // 000000004220: 923E4B04
	s_mov_b32 s55, s61                                         // 000000004224: BEB7003D
	s_mul_i32 s60, s5, s59                                     // 000000004228: 923C3B05
	s_add_u32 s55, s60, s55                                    // 00000000422C: 8037373C
	s_sub_i32 s60, s58, s59                                    // 000000004230: 81BC3B3A
	s_mul_i32 s61, s5, s60                                     // 000000004234: 923D3C05
	s_lshr_b32 s61, s61, 2                                     // 000000004238: 8F3D823D
	s_mov_b32 s10, s61                                         // 00000000423C: BE8A003D
	s_add_u32 s8, s55, s76                                     // 000000004240: 80084C37
	s_addc_u32 s9, 0, s77                                      // 000000004244: 82094D80
	s_mul_hi_u32 s61, s4, s75                                  // 000000004248: 963D4B04
	s_and_b32 s61, s61, 0xffff                                 // 00000000424C: 863DFF3D 0000FFFF
	s_add_u32 s8, s8, s62                                      // 000000004254: 80083E08
	s_addc_u32 s9, s9, s61                                     // 000000004258: 82093D09
	s_mul_i32 s61, s3, s88                                     // 00000000425C: 923D5803
	s_mul_i32 s62, s4, s89                                     // 000000004260: 923E5904
	s_mov_b32 s56, s61                                         // 000000004264: BEB8003D
	s_mul_i32 s61, s51, s59                                    // 000000004268: 923D3B33
	s_add_u32 s56, s61, s56                                    // 00000000426C: 8038383D
	s_mul_i32 s61, s51, s60                                    // 000000004270: 923D3C33
	s_lshr_b32 s61, s61, 2                                     // 000000004274: 8F3D823D
	s_mov_b32 s22, s61                                         // 000000004278: BE96003D
	s_add_u32 s20, s56, s82                                    // 00000000427C: 80145238
	s_addc_u32 s21, 0, s83                                     // 000000004280: 82155380
	s_mul_hi_u32 s61, s4, s89                                  // 000000004284: 963D5904
	s_and_b32 s61, s61, 0xffff                                 // 000000004288: 863DFF3D 0000FFFF
	s_add_u32 s20, s20, s62                                    // 000000004290: 80143E14
	s_addc_u32 s21, s21, s61                                   // 000000004294: 82153D15
	s_mul_i32 s62, s4, s96                                     // 000000004298: 923E6004
	s_mul_i32 s62, s62, s49                                    // 00000000429C: 923E313E
	s_lshl_b32 s62, s62, 2                                     // 0000000042A0: 8E3E823E
	s_mul_i32 s61, s3, s49                                     // 0000000042A4: 923D3103
	s_mul_i32 s61, 4, s61                                      // 0000000042A8: 923D3D84
	s_add_u32 s65, s61, s62                                    // 0000000042AC: 80413E3D
	s_mul_i32 s60, 4, s58                                      // 0000000042B0: 923C3A84
	s_add_u32 s60, s60, s61                                    // 0000000042B4: 803C3D3C
	s_add_u32 s60, s60, s62                                    // 0000000042B8: 803C3E3C
	s_lshr_b32 s60, s60, 2                                     // 0000000042BC: 8F3C823C
	s_add_u32 s24, s65, s24                                    // 0000000042C0: 80181841
	s_addc_u32 s25, 0, s25                                     // 0000000042C4: 82191980
	s_add_u32 s28, s65, s28                                    // 0000000042C8: 801C1C41
	s_addc_u32 s29, 0, s29                                     // 0000000042CC: 821D1D80
	s_mov_b32 s26, s60                                         // 0000000042D0: BE9A003C
	s_mov_b32 s30, s60                                         // 0000000042D4: BE9E003C
	s_cmp_lt_u32 s46, 2                                        // 0000000042D8: BF0A822E
	s_cselect_b32 s24, s24, s28                                // 0000000042DC: 85181C18
	s_cselect_b32 s25, s25, s29                                // 0000000042E0: 85191D19
	s_cselect_b32 s26, s26, s30                                // 0000000042E4: 851A1E1A
	s_cselect_b32 s27, s27, s31                                // 0000000042E8: 851B1F1B
	s_mov_b32 s71, s6                                          // 0000000042EC: BEC70006
	v_lshrrev_b32_e32 v28, 4, v0                               // 0000000042F0: 20380084
	v_and_b32_e32 v29, 1, v28                                  // 0000000042F4: 263A3881
	v_lshlrev_b32_e32 v29, 1, v29                              // 0000000042F8: 243A3A81
	v_mul_i32_i24_e32 v29, s71, v29                            // 0000000042FC: 0C3A3A47
	v_and_b32_e32 v30, 2, v28                                  // 000000004300: 263C3882
	v_lshlrev_b32_e32 v30, 5, v30                              // 000000004304: 243C3C85
	v_add_u32_e32 v29, v30, v29                                // 000000004308: 683A3B1E
	v_and_b32_e32 v28, 15, v0                                  // 00000000430C: 2638008F
	v_lshlrev_b32_e32 v28, 2, v28                              // 000000004310: 24383882
	v_add_u32_e32 v1, v28, v29                                 // 000000004314: 68023B1C
	s_and_b32 s60, 1, s46                                      // 000000004318: 863C2E81
	s_mul_i32 s60, s60, s71                                    // 00000000431C: 923C473C
	s_mul_i32 s60, s60, 8                                      // 000000004320: 923C883C
	s_lshr_b32 s61, s46, 1                                     // 000000004324: 8F3D812E
	s_mul_i32 s61, s61, 0x80                                   // 000000004328: 923DFF3D 00000080
	s_add_u32 s60, s60, s61                                    // 000000004330: 803C3D3C
	v_add_u32_e32 v1, s60, v1                                  // 000000004334: 6802023C
	v_add_u32_e32 v2, s71, v1                                  // 000000004338: 68040247
	s_mul_i32 s60, 4, s71                                      // 00000000433C: 923C4784
	v_add_u32_e32 v3, s60, v1                                  // 000000004340: 6806023C
	v_add_u32_e32 v4, s60, v2                                  // 000000004344: 6808043C
	s_mov_b32 s71, s7                                          // 000000004348: BEC70007
	v_lshrrev_b32_e32 v28, 4, v0                               // 00000000434C: 20380084
	v_and_b32_e32 v29, 1, v28                                  // 000000004350: 263A3881
	v_lshlrev_b32_e32 v29, 1, v29                              // 000000004354: 243A3A81
	v_mul_i32_i24_e32 v29, s71, v29                            // 000000004358: 0C3A3A47
	v_and_b32_e32 v30, 2, v28                                  // 00000000435C: 263C3882
	v_lshlrev_b32_e32 v30, 5, v30                              // 000000004360: 243C3C85
	v_add_u32_e32 v29, v30, v29                                // 000000004364: 683A3B1E
	v_and_b32_e32 v28, 15, v0                                  // 000000004368: 2638008F
	v_lshlrev_b32_e32 v28, 2, v28                              // 00000000436C: 24383882
	v_add_u32_e32 v248, v28, v29                               // 000000004370: 69F03B1C
	s_and_b32 s60, 1, s46                                      // 000000004374: 863C2E81
	s_mul_i32 s60, s60, s71                                    // 000000004378: 923C473C
	s_mul_i32 s60, s60, 8                                      // 00000000437C: 923C883C
	s_lshr_b32 s61, s46, 1                                     // 000000004380: 8F3D812E
	s_mul_i32 s61, s61, 0x80                                   // 000000004384: 923DFF3D 00000080
	s_add_u32 s60, s60, s61                                    // 00000000438C: 803C3D3C
	v_add_u32_e32 v248, s60, v248                              // 000000004390: 69F1F03C
	v_add_u32_e32 v249, s71, v248                              // 000000004394: 69F3F047
	s_mul_i32 s60, 4, s71                                      // 000000004398: 923C4784
	v_add_u32_e32 v250, s60, v248                              // 00000000439C: 69F5F03C
	v_add_u32_e32 v251, s60, v249                              // 0000000043A0: 69F7F23C
	v_lshrrev_b32_e32 v1, 2, v1                                // 0000000043A4: 20020282
	v_lshrrev_b32_e32 v2, 2, v2                                // 0000000043A8: 20040482
	v_lshrrev_b32_e32 v3, 2, v3                                // 0000000043AC: 20060682
	v_lshrrev_b32_e32 v4, 2, v4                                // 0000000043B0: 20080882
	v_lshrrev_b32_e32 v248, 2, v248                            // 0000000043B4: 21F1F082
	v_lshrrev_b32_e32 v249, 2, v249                            // 0000000043B8: 21F3F282
	v_lshrrev_b32_e32 v250, 2, v250                            // 0000000043BC: 21F5F482
	v_lshrrev_b32_e32 v251, 2, v251                            // 0000000043C0: 21F7F682
	s_mul_i32 s60, 4, s59                                      // 0000000043C4: 923C3B84
	v_and_b32_e32 v9, 15, v0                                   // 0000000043C8: 2612008F
	v_lshlrev_b32_e32 v9, 2, v9                                // 0000000043CC: 24121282
	v_add_u32_e32 v9, s60, v9                                  // 0000000043D0: 6812123C
	v_lshrrev_b32_e32 v9, 2, v9                                // 0000000043D4: 20121282
	s_mov_b32 s70, s52                                         // 0000000043D8: BEC60034
	v_lshrrev_b32_e32 v28, 4, v0                               // 0000000043DC: 20380084
	v_mul_i32_i24_e32 v5, s70, v28                             // 0000000043E0: 0C0A3846
	v_lshrrev_b32_e32 v5, 2, v5                                // 0000000043E4: 200A0A82
	v_and_b32_e32 v28, 15, v0                                  // 0000000043E8: 2638008F
	v_lshlrev_b32_e32 v29, 2, v28                              // 0000000043EC: 243A3882
	v_add_u32_e32 v5, v29, v5                                  // 0000000043F0: 680A0B1D
	s_mul_i32 s60, 16, s70                                     // 0000000043F4: 923C4690
	s_mul_i32 s60, s46, s60                                    // 0000000043F8: 923C3C2E
	v_lshlrev_b32_e32 v5, 2, v5                                // 0000000043FC: 240A0A82
	v_add_u32_e32 v5, s60, v5                                  // 000000004400: 680A0A3C
	s_mul_i32 s60, 0xc0, s52                                   // 000000004404: 923C34FF 000000C0
	s_mul_i32 s60, s2, s60                                     // 00000000440C: 923C3C02
	s_mul_i32 s61, s3, s90                                     // 000000004410: 923D5A03
	s_mul_i32 s62, s4, s91                                     // 000000004414: 923E5B04
	s_add_u32 s60, s60, s61                                    // 000000004418: 803C3D3C
	v_add_u32_e32 v5, s60, v5                                  // 00000000441C: 680A0A3C
	v_lshrrev_b32_e32 v5, 2, v5                                // 000000004420: 200A0A82
	s_mul_i32 s60, s50, s52                                    // 000000004424: 923C3432
	s_add_u32 s60, s60, s61                                    // 000000004428: 803C3D3C
	s_lshr_b32 s60, s60, 2                                     // 00000000442C: 8F3C823C
	s_mov_b32 s38, s60                                         // 000000004430: BEA6003C
	s_mul_hi_u32 s61, s4, s91                                  // 000000004434: 963D5B04
	s_and_b32 s61, s61, 0xffff                                 // 000000004438: 863DFF3D 0000FFFF
	s_add_u32 s36, s62, s36                                    // 000000004440: 8024243E
	s_addc_u32 s37, s61, s37                                   // 000000004444: 8225253D
	s_mov_b32 s70, s53                                         // 000000004448: BEC60035
	v_lshrrev_b32_e32 v28, 4, v0                               // 00000000444C: 20380084
	v_mul_i32_i24_e32 v6, s70, v28                             // 000000004450: 0C0C3846
	v_lshrrev_b32_e32 v6, 2, v6                                // 000000004454: 200C0C82
	v_and_b32_e32 v28, 15, v0                                  // 000000004458: 2638008F
	v_lshlrev_b32_e32 v29, 2, v28                              // 00000000445C: 243A3882
	v_add_u32_e32 v6, v29, v6                                  // 000000004460: 680C0D1D
	s_mul_i32 s60, 16, s70                                     // 000000004464: 923C4690
	s_mul_i32 s60, s46, s60                                    // 000000004468: 923C3C2E
	v_lshlrev_b32_e32 v6, 2, v6                                // 00000000446C: 240C0C82
	v_add_u32_e32 v6, s60, v6                                  // 000000004470: 680C0C3C
	s_mul_i32 s60, 0xc0, s53                                   // 000000004474: 923C35FF 000000C0
	s_mul_i32 s60, s2, s60                                     // 00000000447C: 923C3C02
	s_mul_i32 s61, s3, s92                                     // 000000004480: 923D5C03
	s_mul_i32 s62, s4, s93                                     // 000000004484: 923E5D04
	s_add_u32 s60, s60, s61                                    // 000000004488: 803C3D3C
	v_add_u32_e32 v6, s60, v6                                  // 00000000448C: 680C0C3C
	v_lshrrev_b32_e32 v6, 2, v6                                // 000000004490: 200C0C82
	s_mul_i32 s60, s50, s53                                    // 000000004494: 923C3532
	s_add_u32 s60, s60, s61                                    // 000000004498: 803C3D3C
	s_lshr_b32 s60, s60, 2                                     // 00000000449C: 8F3C823C
	s_mov_b32 s42, s60                                         // 0000000044A0: BEAA003C
	s_mul_hi_u32 s61, s4, s93                                  // 0000000044A4: 963D5D04
	s_and_b32 s61, s61, 0xffff                                 // 0000000044A8: 863DFF3D 0000FFFF
	s_add_u32 s40, s62, s40                                    // 0000000044B0: 8028283E
	s_addc_u32 s41, s61, s41                                   // 0000000044B4: 8229293D
	v_lshrrev_b32_e32 v28, 5, v0                               // 0000000044B8: 20380085
	v_mul_i32_i24_e64 v29, s94, 2                              // 0000000044BC: D106001D 0001045E
	v_mul_i32_i24_e32 v7, v29, v28                             // 0000000044C4: 0C0E391D
	v_and_b32_e32 v28, 31, v0                                  // 0000000044C8: 2638009F
	v_add_u32_e32 v7, v28, v7                                  // 0000000044CC: 680E0F1C
	s_mul_i32 s60, 4, s94                                      // 0000000044D0: 923C5E84
	s_mul_i32 s60, s46, s60                                    // 0000000044D4: 923C3C2E
	v_add_u32_e32 v7, s60, v7                                  // 0000000044D8: 680E0E3C
	v_lshlrev_b32_e32 v7, 2, v7                                // 0000000044DC: 240E0E82
	v_mul_i32_i24_e32 v29, 2, v29                              // 0000000044E0: 0C3A3A82
	v_add_u32_e32 v8, v29, v7                                  // 0000000044E4: 68100F1D
	s_mul_i32 s60, 4, s59                                      // 0000000044E8: 923C3B84
	s_add_u32 s60, s65, s60                                    // 0000000044EC: 803C3C41
	s_mul_i32 s72, s94, s60                                    // 0000000044F0: 92483C5E
	s_mul_hi_u32 s62, s94, s60                                 // 0000000044F4: 963E3C5E
	s_and_b32 s62, s62, 0xffff                                 // 0000000044F8: 863EFF3E 0000FFFF
	s_add_u32 s32, s72, s32                                    // 000000004500: 80202048
	s_addc_u32 s33, s62, s33                                   // 000000004504: 8221213E
	s_sub_i32 s60, s58, s59                                    // 000000004508: 81BC3B3A
	s_mul_i32 s60, s94, s60                                    // 00000000450C: 923C3C5E
	s_lshl_b32 s60, s60, 2                                     // 000000004510: 8E3C823C
	s_mov_b32 s34, s60                                         // 000000004514: BEA2003C
	s_mul_i32 s60, 3, s2                                       // 000000004518: 923C0283
	s_add_u32 s61, s50, 63                                     // 00000000451C: 803DBF32
	s_lshr_b32 s61, s61, 6                                     // 000000004520: 8F3D863D
	s_sub_i32 s73, s61, s60                                    // 000000004524: 81C93C3D
	s_cmp_lt_i32 s73, 3                                        // 000000004528: BF048349
	s_cselect_b32 s73, s73, 3                                  // 00000000452C: 85498349
	s_lshr_b32 s60, s46, 1                                     // 000000004530: 8F3C812E
	s_lshl_b32 s60, s60, 8                                     // 000000004534: 8E3C883C
	s_add_u32 s74, 0xc600, s60                                 // 000000004538: 804A3CFF 0000C600
	s_add_u32 s75, 0x200, s74                                  // 000000004540: 804B4AFF 00000200
	s_mov_b32 m0, s74                                          // 000000004548: BEFC004A
	v_lshrrev_b32_e32 v28, 2, v0                               // 00000000454C: 20380082
	v_and_b32_e32 v29, 3, v28                                  // 000000004550: 263A3883
	v_lshrrev_b32_e32 v30, 3, v28                              // 000000004554: 203C3883
	v_lshlrev_b32_e32 v30, 2, v30                              // 000000004558: 243C3C82
	v_add_u32_e32 v28, v30, v29                                // 00000000455C: 68383B1E
	s_lshr_b32 s60, s46, 1                                     // 000000004560: 8F3C812E
	s_sub_i32 s60, 1, s60                                      // 000000004564: 81BC3C81
	v_mul_i32_i24_e64 v29, s60, 8                              // 000000004568: D106001D 0001103C
	v_mov_b32_e32 v30, s94                                     // 000000004570: 7E3C025E
	v_sub_u32_e64 v30, v30, 64                                 // 000000004574: D135001E 0001811E
	v_lshrrev_b32_e32 v30, 3, v30                              // 00000000457C: 203C3C83
	v_add_u32_e32 v29, v30, v29                                // 000000004580: 683A3B1E
	v_cmp_lt_u32_e64 s[86:87], v28, v29                        // 000000004584: D0C90056 00023B1C
	s_mov_b32 s84, -1                                          // 00000000458C: BED400C1
	s_mov_b32 s85, -1                                          // 000000004590: BED500C1
	v_and_b32_e32 v28, 15, v0                                  // 000000004594: 2638008F
	v_mov_b32_e32 v29, s94                                     // 000000004598: 7E3A025E
	v_lshrrev_b32_e32 v29, 3, v29                              // 00000000459C: 203A3A83
	v_cmp_lt_u32_e64 s[88:89], v28, v29                        // 0000000045A0: D0C90058 00023B1C
	s_sub_i32 s100, s50, s80                                   // 0000000045A8: 81E45032
	v_and_b32_e32 v28, 31, v0                                  // 0000000045AC: 2638009F
	v_lshrrev_b32_e32 v28, 1, v28                              // 0000000045B0: 20383881
	v_and_b32_e32 v29, 1, v28                                  // 0000000045B4: 263A3881
	v_lshlrev_b32_e32 v29, 4, v29                              // 0000000045B8: 243A3A84
	v_and_b32_e32 v30, 2, v28                                  // 0000000045BC: 263C3882
	v_lshlrev_b32_e32 v30, 2, v30                              // 0000000045C0: 243C3C82
	v_add_u32_e32 v29, v30, v29                                // 0000000045C4: 683A3B1E
	v_and_b32_e32 v30, 12, v28                                 // 0000000045C8: 263C388C
	v_lshrrev_b32_e32 v30, 1, v30                              // 0000000045CC: 203C3C81
	v_add_u32_e32 v29, v30, v29                                // 0000000045D0: 683A3B1E
	v_lshrrev_b32_e32 v28, 5, v0                               // 0000000045D4: 20380085
	v_mul_i32_i24_e32 v30, 0x80, v28                           // 0000000045D8: 0C3C38FF 00000080
	v_add_u32_e32 v29, v30, v29                                // 0000000045E0: 683A3B1E
	v_and_b32_e32 v30, 1, v0                                   // 0000000045E4: 263C0081
	v_add_u32_e32 v11, v30, v29                                // 0000000045E8: 68163B1E
	s_and_b32 s60, 1, s46                                      // 0000000045EC: 863C2E81
	s_mul_i32 s60, s60, 64                                     // 0000000045F0: 923CC03C
	s_lshr_b32 s61, s46, 1                                     // 0000000045F4: 8F3D812E
	s_mul_i32 s61, s61, 0x220                                  // 0000000045F8: 923DFF3D 00000220
	s_add_u32 s60, s60, s61                                    // 000000004600: 803C3D3C
	v_add_u32_e32 v11, s60, v11                                // 000000004604: 6816163C
	v_lshlrev_b32_e32 v11, 2, v11                              // 000000004608: 24161682
	v_lshrrev_b32_e32 v28, 4, v0                               // 00000000460C: 20380084
	v_and_b32_e32 v29, 1, v28                                  // 000000004610: 263A3881
	v_lshlrev_b32_e32 v29, 4, v29                              // 000000004614: 243A3A84
	v_and_b32_e32 v30, 2, v28                                  // 000000004618: 263C3882
	v_mul_i32_i24_e32 v30, 4, v30                              // 00000000461C: 0C3C3C84
	v_add_u32_e32 v29, v30, v29                                // 000000004620: 683A3B1E
	v_and_b32_e32 v28, 15, v0                                  // 000000004624: 2638008F
	v_lshrrev_b32_e32 v30, 2, v28                              // 000000004628: 203C3882
	v_lshlrev_b32_e32 v30, 5, v30                              // 00000000462C: 243C3C85
	v_add_u32_e32 v29, v30, v29                                // 000000004630: 683A3B1E
	v_and_b32_e32 v28, 3, v0                                   // 000000004634: 26380083
	v_and_b32_e32 v30, 1, v28                                  // 000000004638: 263C3881
	v_mul_i32_i24_e32 v30, 0x108, v30                          // 00000000463C: 0C3C3CFF 00000108
	v_add_u32_e32 v29, v30, v29                                // 000000004644: 683A3B1E
	v_and_b32_e32 v30, 2, v28                                  // 000000004648: 263C3882
	v_lshlrev_b32_e32 v30, 1, v30                              // 00000000464C: 243C3C81
	v_add_u32_e32 v10, v30, v29                                // 000000004650: 68143B1E
	v_lshlrev_b32_e32 v10, 2, v10                              // 000000004654: 24141482
	s_mul_i32 s60, s46, 0x1100                                 // 000000004658: 923CFF2E 00001100
	v_add_u32_e32 v22, s60, v10                                // 000000004660: 682C143C
	v_lshrrev_b32_e32 v28, 5, v0                               // 000000004664: 20380085
	v_mul_i32_i24_e32 v13, 0x80, v28                           // 000000004668: 0C1A38FF 00000080
	v_and_b32_e32 v28, 31, v0                                  // 000000004670: 2638009F
	v_and_b32_e32 v29, 7, v28                                  // 000000004674: 263A3887
	v_and_b32_e32 v30, 1, v29                                  // 000000004678: 263C3A81
	v_lshlrev_b32_e32 v30, 2, v30                              // 00000000467C: 243C3C82
	v_add_u32_e32 v13, v30, v13                                // 000000004680: 681A1B1E
	v_and_b32_e32 v30, 2, v29                                  // 000000004684: 263C3A82
	v_lshlrev_b32_e32 v30, 3, v30                              // 000000004688: 243C3C83
	v_add_u32_e32 v13, v30, v13                                // 00000000468C: 681A1B1E
	v_and_b32_e32 v30, 4, v29                                  // 000000004690: 263C3A84
	v_lshlrev_b32_e32 v30, 1, v30                              // 000000004694: 243C3C81
	v_add_u32_e32 v13, v30, v13                                // 000000004698: 681A1B1E
	v_lshrrev_b32_e32 v29, 3, v28                              // 00000000469C: 203A3883
	v_and_b32_e32 v30, 1, v29                                  // 0000000046A0: 263C3A81
	v_lshlrev_b32_e32 v30, 1, v30                              // 0000000046A4: 243C3C81
	v_add_u32_e32 v13, v30, v13                                // 0000000046A8: 681A1B1E
	v_and_b32_e32 v30, 2, v29                                  // 0000000046AC: 263C3A82
	v_lshrrev_b32_e32 v30, 1, v30                              // 0000000046B0: 203C3C81
	v_add_u32_e32 v13, v30, v13                                // 0000000046B4: 681A1B1E
	s_and_b32 s60, 1, s46                                      // 0000000046B8: 863C2E81
	s_mul_i32 s60, s60, 64                                     // 0000000046BC: 923CC03C
	s_lshr_b32 s61, s46, 1                                     // 0000000046C0: 8F3D812E
	s_mul_i32 s61, s61, 0x220                                  // 0000000046C4: 923DFF3D 00000220
	s_add_u32 s60, s60, s61                                    // 0000000046CC: 803C3D3C
	v_add_u32_e32 v13, s60, v13                                // 0000000046D0: 681A1A3C
	v_lshlrev_b32_e32 v13, 2, v13                              // 0000000046D4: 241A1A82
	v_and_b32_e32 v28, 15, v0                                  // 0000000046D8: 2638008F
	v_and_b32_e32 v30, 1, v28                                  // 0000000046DC: 263C3881
	v_mul_i32_i24_e32 v12, 0x108, v30                          // 0000000046E0: 0C183CFF 00000108
	v_and_b32_e32 v30, 2, v28                                  // 0000000046E8: 263C3882
	v_lshlrev_b32_e32 v30, 1, v30                              // 0000000046EC: 243C3C81
	v_add_u32_e32 v12, v30, v12                                // 0000000046F0: 6818191E
	v_and_b32_e32 v30, 4, v28                                  // 0000000046F4: 263C3884
	v_lshlrev_b32_e32 v30, 2, v30                              // 0000000046F8: 243C3C82
	v_add_u32_e32 v12, v30, v12                                // 0000000046FC: 6818191E
	v_and_b32_e32 v30, 8, v28                                  // 000000004700: 263C3888
	v_add_u32_e32 v12, v30, v12                                // 000000004704: 6818191E
	v_lshrrev_b32_e32 v28, 4, v0                               // 000000004708: 20380084
	v_and_b32_e32 v30, 1, v28                                  // 00000000470C: 263C3881
	v_lshlrev_b32_e32 v30, 5, v30                              // 000000004710: 243C3C85
	v_add_u32_e32 v12, v30, v12                                // 000000004714: 6818191E
	v_and_b32_e32 v29, 2, v28                                  // 000000004718: 263A3882
	v_mul_i32_i24_e32 v30, 32, v29                             // 00000000471C: 0C3C3AA0
	v_mul_i32_i24_e32 v29, 0x220, v29                          // 000000004720: 0C3A3AFF 00000220
	v_add_u32_e32 v23, v29, v12                                // 000000004728: 682E191D
	v_add_u32_e32 v12, v30, v12                                // 00000000472C: 6818191E
	v_lshlrev_b32_e32 v12, 2, v12                              // 000000004730: 24181882
	v_lshlrev_b32_e32 v23, 2, v23                              // 000000004734: 242E2E82
	s_and_b32 s60, 1, s46                                      // 000000004738: 863C2E81
	s_mul_i32 s60, s60, 0x200                                  // 00000000473C: 923CFF3C 00000200
	s_lshr_b32 s61, s46, 1                                     // 000000004744: 8F3D812E
	s_mul_i32 s61, s61, 0x880                                  // 000000004748: 923DFF3D 00000880
	s_add_u32 s60, s60, s61                                    // 000000004750: 803C3D3C
	v_add_u32_e32 v23, s60, v23                                // 000000004754: 682E2E3C
	v_lshrrev_b32_e32 v28, 4, v0                               // 000000004758: 20380084
	v_mul_i32_i24_e32 v21, 4, v28                              // 00000000475C: 0C2A3884
	v_and_b32_e32 v29, 3, v0                                   // 000000004760: 263A0083
	v_add_u32_e32 v21, v29, v21                                // 000000004764: 682A2B1D
	v_lshlrev_b32_e32 v21, 2, v21                              // 000000004768: 242A2A82
	v_lshrrev_b32_e32 v28, 4, v0                               // 00000000476C: 20380084
	v_and_b32_e32 v29, 1, v28                                  // 000000004770: 263A3881
	v_mul_i32_i24_e32 v19, 0x100, v29                          // 000000004774: 0C263AFF 00000100
	v_and_b32_e32 v29, 2, v28                                  // 00000000477C: 263A3882
	v_mul_i32_i24_e32 v29, 64, v29                             // 000000004780: 0C3A3AC0
	v_add_u32_e32 v19, v29, v19                                // 000000004784: 6826271D
	v_and_b32_e32 v28, 15, v0                                  // 000000004788: 2638008F
	v_mul_i32_i24_e32 v29, 2, v28                              // 00000000478C: 0C3A3882
	v_add_u32_e32 v19, v29, v19                                // 000000004790: 6826271D
	s_mul_i32 s60, s46, 32                                     // 000000004794: 923CA02E
	v_add_u32_e32 v19, s60, v19                                // 000000004798: 6826263C
	v_lshlrev_b32_e32 v19, 2, v19                              // 00000000479C: 24262682
	v_lshlrev_b32_e32 v20, 1, v0                               // 0000000047A0: 24280081
	s_mul_i32 s60, s46, 0x200                                  // 0000000047A4: 923CFF2E 00000200
	v_add_u32_e32 v20, s60, v20                                // 0000000047AC: 6828283C
	v_lshlrev_b32_e32 v20, 2, v20                              // 0000000047B0: 24282882
	v_lshrrev_b32_e32 v28, 5, v0                               // 0000000047B4: 20380085
	v_mul_i32_i24_e32 v17, 64, v28                             // 0000000047B8: 0C2238C0
	v_and_b32_e32 v28, 31, v0                                  // 0000000047BC: 2638009F
	v_and_b32_e32 v28, 3, v28                                  // 0000000047C0: 26383883
	v_and_b32_e32 v29, 1, v28                                  // 0000000047C4: 263A3881
	v_mul_i32_i24_e32 v29, 4, v29                              // 0000000047C8: 0C3A3A84
	v_add_u32_e32 v17, v29, v17                                // 0000000047CC: 6822231D
	v_and_b32_e32 v29, 2, v28                                  // 0000000047D0: 263A3882
	v_mul_i32_i24_e32 v29, 0x44, v29                           // 0000000047D4: 0C3A3AFF 00000044
	v_add_u32_e32 v17, v29, v17                                // 0000000047DC: 6822231D
	v_and_b32_e32 v28, 31, v0                                  // 0000000047E0: 2638009F
	v_lshrrev_b32_e32 v28, 2, v28                              // 0000000047E4: 20383882
	v_lshrrev_b32_e32 v30, 2, v28                              // 0000000047E8: 203C3882
	v_mul_i32_i24_e32 v29, 16, v30                             // 0000000047EC: 0C3A3C90
	v_add_u32_e32 v17, v29, v17                                // 0000000047F0: 6822231D
	v_and_b32_e32 v29, 2, v28                                  // 0000000047F4: 263A3882
	v_lshlrev_b32_e32 v29, 4, v29                              // 0000000047F8: 243A3A84
	v_add_u32_e32 v17, v29, v17                                // 0000000047FC: 6822231D
	v_and_b32_e32 v29, 1, v28                                  // 000000004800: 263A3881
	v_xor_b32_e32 v29, v30, v29                                // 000000004804: 2A3A3B1E
	v_mul_i32_i24_e32 v29, 8, v29                              // 000000004808: 0C3A3A88
	v_add_u32_e32 v17, v29, v17                                // 00000000480C: 6822231D
	v_lshlrev_b32_e32 v17, 2, v17                              // 000000004810: 24222282
	v_lshrrev_b32_e32 v28, 5, v0                               // 000000004814: 20380085
	v_mul_i32_i24_e32 v18, 32, v28                             // 000000004818: 0C2438A0
	v_and_b32_e32 v28, 31, v0                                  // 00000000481C: 2638009F
	v_and_b32_e32 v28, 3, v28                                  // 000000004820: 26383883
	v_and_b32_e32 v29, 1, v28                                  // 000000004824: 263A3881
	v_mul_i32_i24_e32 v29, 4, v29                              // 000000004828: 0C3A3A84
	v_add_u32_e32 v18, v29, v18                                // 00000000482C: 6824251D
	v_and_b32_e32 v29, 2, v28                                  // 000000004830: 263A3882
	v_lshrrev_b32_e32 v29, 1, v29                              // 000000004834: 203A3A81
	v_add_u32_e32 v18, v29, v18                                // 000000004838: 6824251D
	v_and_b32_e32 v28, 31, v0                                  // 00000000483C: 2638009F
	v_lshrrev_b32_e32 v28, 2, v28                              // 000000004840: 20383882
	v_and_b32_e32 v30, 1, v28                                  // 000000004844: 263C3881
	v_mul_i32_i24_e32 v29, 16, v30                             // 000000004848: 0C3A3C90
	v_add_u32_e32 v18, v29, v18                                // 00000000484C: 6824251D
	v_and_b32_e32 v29, 2, v28                                  // 000000004850: 263A3882
	v_add_u32_e32 v18, v29, v18                                // 000000004854: 6824251D
	v_lshrrev_b32_e32 v29, 2, v28                              // 000000004858: 203A3882
	v_xor_b32_e32 v29, v30, v29                                // 00000000485C: 2A3A3B1E
	v_mul_i32_i24_e32 v29, 8, v29                              // 000000004860: 0C3A3A88
	v_add_u32_e32 v18, v29, v18                                // 000000004864: 6824251D
	s_and_b32 s60, 1, s46                                      // 000000004868: 863C2E81
	s_mul_i32 s60, s60, 64                                     // 00000000486C: 923CC03C
	s_lshr_b32 s61, s46, 1                                     // 000000004870: 8F3D812E
	s_mul_i32 s61, s61, 0x120                                  // 000000004874: 923DFF3D 00000120
	s_add_u32 s60, s60, s61                                    // 00000000487C: 803C3D3C
	v_add_u32_e32 v18, s60, v18                                // 000000004880: 6824243C
	v_lshlrev_b32_e32 v18, 2, v18                              // 000000004884: 24242482
	v_mov_b32_e32 v152, 0                                      // 000000004888: 7F300280
	s_mov_b64 exec, s[86:87]                                   // 00000000488C: BEFE0156
	buffer_load_dword v152, v1, s[12:15], 0 idxen              // 000000004890: E0502000 80039801
	s_mov_b64 exec, s[84:85]                                   // 000000004898: BEFE0154
	v_mov_b32_e32 v153, 0                                      // 00000000489C: 7F320280
	s_mov_b64 exec, s[86:87]                                   // 0000000048A0: BEFE0156
	buffer_load_dword v153, v2, s[12:15], 0 idxen              // 0000000048A4: E0502000 80039902
	s_mov_b64 exec, s[84:85]                                   // 0000000048AC: BEFE0154
	v_mov_b32_e32 v154, 0                                      // 0000000048B0: 7F340280
	s_mov_b64 exec, s[86:87]                                   // 0000000048B4: BEFE0156
	buffer_load_dword v154, v3, s[12:15], 0 idxen              // 0000000048B8: E0502000 80039A03
	s_mov_b64 exec, s[84:85]                                   // 0000000048C0: BEFE0154
	v_mov_b32_e32 v155, 0                                      // 0000000048C4: 7F360280
	s_mov_b64 exec, s[86:87]                                   // 0000000048C8: BEFE0156
	buffer_load_dword v155, v4, s[12:15], 0 idxen              // 0000000048CC: E0502000 80039B04
	s_mov_b64 exec, s[84:85]                                   // 0000000048D4: BEFE0154
	s_mul_i32 s60, 4, s6                                       // 0000000048D8: 923C0684
	s_cmp_lt_i32 0, s73                                        // 0000000048DC: BF044980
	s_cselect_b32 s60, s60, 0                                  // 0000000048E0: 853C803C
	v_add_u32_e32 v1, s60, v1                                  // 0000000048E4: 6802023C
	v_add_u32_e32 v2, s60, v2                                  // 0000000048E8: 6804043C
	v_add_u32_e32 v3, s60, v3                                  // 0000000048EC: 6806063C
	v_add_u32_e32 v4, s60, v4                                  // 0000000048F0: 6808083C
	v_mov_b32_e32 v156, 0                                      // 0000000048F4: 7F380280
	s_mov_b64 exec, s[86:87]                                   // 0000000048F8: BEFE0156
	buffer_load_dword v156, v1, s[12:15], 0 idxen              // 0000000048FC: E0502000 80039C01
	s_mov_b64 exec, s[84:85]                                   // 000000004904: BEFE0154
	v_mov_b32_e32 v157, 0                                      // 000000004908: 7F3A0280
	s_mov_b64 exec, s[86:87]                                   // 00000000490C: BEFE0156
	buffer_load_dword v157, v2, s[12:15], 0 idxen              // 000000004910: E0502000 80039D02
	s_mov_b64 exec, s[84:85]                                   // 000000004918: BEFE0154
	v_mov_b32_e32 v158, 0                                      // 00000000491C: 7F3C0280
	s_mov_b64 exec, s[86:87]                                   // 000000004920: BEFE0156
	buffer_load_dword v158, v3, s[12:15], 0 idxen              // 000000004924: E0502000 80039E03
	s_mov_b64 exec, s[84:85]                                   // 00000000492C: BEFE0154
	v_mov_b32_e32 v159, 0                                      // 000000004930: 7F3E0280
	s_mov_b64 exec, s[86:87]                                   // 000000004934: BEFE0156
	buffer_load_dword v159, v4, s[12:15], 0 idxen              // 000000004938: E0502000 80039F04
	s_mov_b64 exec, s[84:85]                                   // 000000004940: BEFE0154
	s_mul_i32 s60, 4, s6                                       // 000000004944: 923C0684
	s_cmp_lt_i32 0, s73                                        // 000000004948: BF044980
	s_cselect_b32 s60, s60, 0                                  // 00000000494C: 853C803C
	v_add_u32_e32 v1, s60, v1                                  // 000000004950: 6802023C
	v_add_u32_e32 v2, s60, v2                                  // 000000004954: 6804043C
	v_add_u32_e32 v3, s60, v3                                  // 000000004958: 6806063C
	v_add_u32_e32 v4, s60, v4                                  // 00000000495C: 6808083C
	v_mov_b32_e32 v160, 0                                      // 000000004960: 7F400280
	s_mov_b64 exec, s[86:87]                                   // 000000004964: BEFE0156
	buffer_load_dword v160, v1, s[12:15], 0 idxen              // 000000004968: E0502000 8003A001
	s_mov_b64 exec, s[84:85]                                   // 000000004970: BEFE0154
	v_mov_b32_e32 v161, 0                                      // 000000004974: 7F420280
	s_mov_b64 exec, s[86:87]                                   // 000000004978: BEFE0156
	buffer_load_dword v161, v2, s[12:15], 0 idxen              // 00000000497C: E0502000 8003A102
	s_mov_b64 exec, s[84:85]                                   // 000000004984: BEFE0154
	v_mov_b32_e32 v162, 0                                      // 000000004988: 7F440280
	s_mov_b64 exec, s[86:87]                                   // 00000000498C: BEFE0156
	buffer_load_dword v162, v3, s[12:15], 0 idxen              // 000000004990: E0502000 8003A203
	s_mov_b64 exec, s[84:85]                                   // 000000004998: BEFE0154
	v_mov_b32_e32 v163, 0                                      // 00000000499C: 7F460280
	s_mov_b64 exec, s[86:87]                                   // 0000000049A0: BEFE0156
	buffer_load_dword v163, v4, s[12:15], 0 idxen              // 0000000049A4: E0502000 8003A304
	s_mov_b64 exec, s[84:85]                                   // 0000000049AC: BEFE0154
	s_mul_i32 s60, 4, s6                                       // 0000000049B0: 923C0684
	s_cmp_lt_i32 0, s73                                        // 0000000049B4: BF044980
	s_cselect_b32 s60, s60, 0                                  // 0000000049B8: 853C803C
	v_add_u32_e32 v1, s60, v1                                  // 0000000049BC: 6802023C
	v_add_u32_e32 v2, s60, v2                                  // 0000000049C0: 6804043C
	v_add_u32_e32 v3, s60, v3                                  // 0000000049C4: 6806063C
	v_add_u32_e32 v4, s60, v4                                  // 0000000049C8: 6808083C
	v_mov_b32_e32 v164, 0                                      // 0000000049CC: 7F480280
	s_mov_b64 exec, s[86:87]                                   // 0000000049D0: BEFE0156
	buffer_load_dword v164, v1, s[12:15], 0 idxen              // 0000000049D4: E0502000 8003A401
	s_mov_b64 exec, s[84:85]                                   // 0000000049DC: BEFE0154
	v_mov_b32_e32 v165, 0                                      // 0000000049E0: 7F4A0280
	s_mov_b64 exec, s[86:87]                                   // 0000000049E4: BEFE0156
	buffer_load_dword v165, v2, s[12:15], 0 idxen              // 0000000049E8: E0502000 8003A502
	s_mov_b64 exec, s[84:85]                                   // 0000000049F0: BEFE0154
	v_mov_b32_e32 v166, 0                                      // 0000000049F4: 7F4C0280
	s_mov_b64 exec, s[86:87]                                   // 0000000049F8: BEFE0156
	buffer_load_dword v166, v3, s[12:15], 0 idxen              // 0000000049FC: E0502000 8003A603
	s_mov_b64 exec, s[84:85]                                   // 000000004A04: BEFE0154
	v_mov_b32_e32 v167, 0                                      // 000000004A08: 7F4E0280
	s_mov_b64 exec, s[86:87]                                   // 000000004A0C: BEFE0156
	buffer_load_dword v167, v4, s[12:15], 0 idxen              // 000000004A10: E0502000 8003A704
	s_mov_b64 exec, s[84:85]                                   // 000000004A18: BEFE0154
	s_mul_i32 s60, 4, s6                                       // 000000004A1C: 923C0684
	s_cmp_lt_i32 1, s73                                        // 000000004A20: BF044981
	s_cselect_b32 s60, s60, 0                                  // 000000004A24: 853C803C
	v_add_u32_e32 v1, s60, v1                                  // 000000004A28: 6802023C
	v_add_u32_e32 v2, s60, v2                                  // 000000004A2C: 6804043C
	v_add_u32_e32 v3, s60, v3                                  // 000000004A30: 6806063C
	v_add_u32_e32 v4, s60, v4                                  // 000000004A34: 6808083C
	v_mov_b32_e32 v168, 0                                      // 000000004A38: 7F500280
	s_mov_b64 exec, s[86:87]                                   // 000000004A3C: BEFE0156
	buffer_load_dword v168, v1, s[12:15], 0 idxen              // 000000004A40: E0502000 8003A801
	s_mov_b64 exec, s[84:85]                                   // 000000004A48: BEFE0154
	v_mov_b32_e32 v169, 0                                      // 000000004A4C: 7F520280
	s_mov_b64 exec, s[86:87]                                   // 000000004A50: BEFE0156
	buffer_load_dword v169, v2, s[12:15], 0 idxen              // 000000004A54: E0502000 8003A902
	s_mov_b64 exec, s[84:85]                                   // 000000004A5C: BEFE0154
	v_mov_b32_e32 v170, 0                                      // 000000004A60: 7F540280
	s_mov_b64 exec, s[86:87]                                   // 000000004A64: BEFE0156
	buffer_load_dword v170, v3, s[12:15], 0 idxen              // 000000004A68: E0502000 8003AA03
	s_mov_b64 exec, s[84:85]                                   // 000000004A70: BEFE0154
	v_mov_b32_e32 v171, 0                                      // 000000004A74: 7F560280
	s_mov_b64 exec, s[86:87]                                   // 000000004A78: BEFE0156
	buffer_load_dword v171, v4, s[12:15], 0 idxen              // 000000004A7C: E0502000 8003AB04
	s_mov_b64 exec, s[84:85]                                   // 000000004A84: BEFE0154
	s_mul_i32 s60, 4, s6                                       // 000000004A88: 923C0684
	s_cmp_lt_i32 1, s73                                        // 000000004A8C: BF044981
	s_cselect_b32 s60, s60, 0                                  // 000000004A90: 853C803C
	v_add_u32_e32 v1, s60, v1                                  // 000000004A94: 6802023C
	v_add_u32_e32 v2, s60, v2                                  // 000000004A98: 6804043C
	v_add_u32_e32 v3, s60, v3                                  // 000000004A9C: 6806063C
	v_add_u32_e32 v4, s60, v4                                  // 000000004AA0: 6808083C
	v_mov_b32_e32 v172, 0                                      // 000000004AA4: 7F580280
	s_mov_b64 exec, s[86:87]                                   // 000000004AA8: BEFE0156
	buffer_load_dword v172, v1, s[12:15], 0 idxen              // 000000004AAC: E0502000 8003AC01
	s_mov_b64 exec, s[84:85]                                   // 000000004AB4: BEFE0154
	v_mov_b32_e32 v173, 0                                      // 000000004AB8: 7F5A0280
	s_mov_b64 exec, s[86:87]                                   // 000000004ABC: BEFE0156
	buffer_load_dword v173, v2, s[12:15], 0 idxen              // 000000004AC0: E0502000 8003AD02
	s_mov_b64 exec, s[84:85]                                   // 000000004AC8: BEFE0154
	v_mov_b32_e32 v174, 0                                      // 000000004ACC: 7F5C0280
	s_mov_b64 exec, s[86:87]                                   // 000000004AD0: BEFE0156
	buffer_load_dword v174, v3, s[12:15], 0 idxen              // 000000004AD4: E0502000 8003AE03
	s_mov_b64 exec, s[84:85]                                   // 000000004ADC: BEFE0154
	v_mov_b32_e32 v175, 0                                      // 000000004AE0: 7F5E0280
	s_mov_b64 exec, s[86:87]                                   // 000000004AE4: BEFE0156
	buffer_load_dword v175, v4, s[12:15], 0 idxen              // 000000004AE8: E0502000 8003AF04
	s_mov_b64 exec, s[84:85]                                   // 000000004AF0: BEFE0154
	s_mul_i32 s60, 4, s6                                       // 000000004AF4: 923C0684
	s_cmp_lt_i32 1, s73                                        // 000000004AF8: BF044981
	s_cselect_b32 s60, s60, 0                                  // 000000004AFC: 853C803C
	v_add_u32_e32 v1, s60, v1                                  // 000000004B00: 6802023C
	v_add_u32_e32 v2, s60, v2                                  // 000000004B04: 6804043C
	v_add_u32_e32 v3, s60, v3                                  // 000000004B08: 6806063C
	v_add_u32_e32 v4, s60, v4                                  // 000000004B0C: 6808083C
	v_mov_b32_e32 v176, 0                                      // 000000004B10: 7F600280
	s_mov_b64 exec, s[86:87]                                   // 000000004B14: BEFE0156
	buffer_load_dword v176, v1, s[12:15], 0 idxen              // 000000004B18: E0502000 8003B001
	s_mov_b64 exec, s[84:85]                                   // 000000004B20: BEFE0154
	v_mov_b32_e32 v177, 0                                      // 000000004B24: 7F620280
	s_mov_b64 exec, s[86:87]                                   // 000000004B28: BEFE0156
	buffer_load_dword v177, v2, s[12:15], 0 idxen              // 000000004B2C: E0502000 8003B102
	s_mov_b64 exec, s[84:85]                                   // 000000004B34: BEFE0154
	v_mov_b32_e32 v178, 0                                      // 000000004B38: 7F640280
	s_mov_b64 exec, s[86:87]                                   // 000000004B3C: BEFE0156
	buffer_load_dword v178, v3, s[12:15], 0 idxen              // 000000004B40: E0502000 8003B203
	s_mov_b64 exec, s[84:85]                                   // 000000004B48: BEFE0154
	v_mov_b32_e32 v179, 0                                      // 000000004B4C: 7F660280
	s_mov_b64 exec, s[86:87]                                   // 000000004B50: BEFE0156
	buffer_load_dword v179, v4, s[12:15], 0 idxen              // 000000004B54: E0502000 8003B304
	s_mov_b64 exec, s[84:85]                                   // 000000004B5C: BEFE0154
	s_mul_i32 s60, 4, s6                                       // 000000004B60: 923C0684
	s_cmp_lt_i32 1, s73                                        // 000000004B64: BF044981
	s_cselect_b32 s60, s60, 0                                  // 000000004B68: 853C803C
	v_add_u32_e32 v1, s60, v1                                  // 000000004B6C: 6802023C
	v_add_u32_e32 v2, s60, v2                                  // 000000004B70: 6804043C
	v_add_u32_e32 v3, s60, v3                                  // 000000004B74: 6806063C
	v_add_u32_e32 v4, s60, v4                                  // 000000004B78: 6808083C
	v_mov_b32_e32 v180, 0                                      // 000000004B7C: 7F680280
	s_mov_b64 exec, s[86:87]                                   // 000000004B80: BEFE0156
	buffer_load_dword v180, v1, s[12:15], 0 idxen              // 000000004B84: E0502000 8003B401
	s_mov_b64 exec, s[84:85]                                   // 000000004B8C: BEFE0154
	v_mov_b32_e32 v181, 0                                      // 000000004B90: 7F6A0280
	s_mov_b64 exec, s[86:87]                                   // 000000004B94: BEFE0156
	buffer_load_dword v181, v2, s[12:15], 0 idxen              // 000000004B98: E0502000 8003B502
	s_mov_b64 exec, s[84:85]                                   // 000000004BA0: BEFE0154
	v_mov_b32_e32 v182, 0                                      // 000000004BA4: 7F6C0280
	s_mov_b64 exec, s[86:87]                                   // 000000004BA8: BEFE0156
	buffer_load_dword v182, v3, s[12:15], 0 idxen              // 000000004BAC: E0502000 8003B603
	s_mov_b64 exec, s[84:85]                                   // 000000004BB4: BEFE0154
	v_mov_b32_e32 v183, 0                                      // 000000004BB8: 7F6E0280
	s_mov_b64 exec, s[86:87]                                   // 000000004BBC: BEFE0156
	buffer_load_dword v183, v4, s[12:15], 0 idxen              // 000000004BC0: E0502000 8003B704
	s_mov_b64 exec, s[84:85]                                   // 000000004BC8: BEFE0154
	s_mul_i32 s60, 4, s6                                       // 000000004BCC: 923C0684
	s_cmp_lt_i32 2, s73                                        // 000000004BD0: BF044982
	s_cselect_b32 s60, s60, 0                                  // 000000004BD4: 853C803C
	v_add_u32_e32 v1, s60, v1                                  // 000000004BD8: 6802023C
	v_add_u32_e32 v2, s60, v2                                  // 000000004BDC: 6804043C
	v_add_u32_e32 v3, s60, v3                                  // 000000004BE0: 6806063C
	v_add_u32_e32 v4, s60, v4                                  // 000000004BE4: 6808083C
	v_mov_b32_e32 v184, 0                                      // 000000004BE8: 7F700280
	s_mov_b64 exec, s[86:87]                                   // 000000004BEC: BEFE0156
	buffer_load_dword v184, v1, s[12:15], 0 idxen              // 000000004BF0: E0502000 8003B801
	s_mov_b64 exec, s[84:85]                                   // 000000004BF8: BEFE0154
	v_mov_b32_e32 v185, 0                                      // 000000004BFC: 7F720280
	s_mov_b64 exec, s[86:87]                                   // 000000004C00: BEFE0156
	buffer_load_dword v185, v2, s[12:15], 0 idxen              // 000000004C04: E0502000 8003B902
	s_mov_b64 exec, s[84:85]                                   // 000000004C0C: BEFE0154
	v_mov_b32_e32 v186, 0                                      // 000000004C10: 7F740280
	s_mov_b64 exec, s[86:87]                                   // 000000004C14: BEFE0156
	buffer_load_dword v186, v3, s[12:15], 0 idxen              // 000000004C18: E0502000 8003BA03
	s_mov_b64 exec, s[84:85]                                   // 000000004C20: BEFE0154
	v_mov_b32_e32 v187, 0                                      // 000000004C24: 7F760280
	s_mov_b64 exec, s[86:87]                                   // 000000004C28: BEFE0156
	buffer_load_dword v187, v4, s[12:15], 0 idxen              // 000000004C2C: E0502000 8003BB04
	s_mov_b64 exec, s[84:85]                                   // 000000004C34: BEFE0154
	s_mul_i32 s60, 4, s6                                       // 000000004C38: 923C0684
	s_cmp_lt_i32 2, s73                                        // 000000004C3C: BF044982
	s_cselect_b32 s60, s60, 0                                  // 000000004C40: 853C803C
	v_add_u32_e32 v1, s60, v1                                  // 000000004C44: 6802023C
	v_add_u32_e32 v2, s60, v2                                  // 000000004C48: 6804043C
	v_add_u32_e32 v3, s60, v3                                  // 000000004C4C: 6806063C
	v_add_u32_e32 v4, s60, v4                                  // 000000004C50: 6808083C
	v_mov_b32_e32 v188, 0                                      // 000000004C54: 7F780280
	s_mov_b64 exec, s[86:87]                                   // 000000004C58: BEFE0156
	buffer_load_dword v188, v1, s[12:15], 0 idxen              // 000000004C5C: E0502000 8003BC01
	s_mov_b64 exec, s[84:85]                                   // 000000004C64: BEFE0154
	v_mov_b32_e32 v189, 0                                      // 000000004C68: 7F7A0280
	s_mov_b64 exec, s[86:87]                                   // 000000004C6C: BEFE0156
	buffer_load_dword v189, v2, s[12:15], 0 idxen              // 000000004C70: E0502000 8003BD02
	s_mov_b64 exec, s[84:85]                                   // 000000004C78: BEFE0154
	v_mov_b32_e32 v190, 0                                      // 000000004C7C: 7F7C0280
	s_mov_b64 exec, s[86:87]                                   // 000000004C80: BEFE0156
	buffer_load_dword v190, v3, s[12:15], 0 idxen              // 000000004C84: E0502000 8003BE03
	s_mov_b64 exec, s[84:85]                                   // 000000004C8C: BEFE0154
	v_mov_b32_e32 v191, 0                                      // 000000004C90: 7F7E0280
	s_mov_b64 exec, s[86:87]                                   // 000000004C94: BEFE0156
	buffer_load_dword v191, v4, s[12:15], 0 idxen              // 000000004C98: E0502000 8003BF04
	s_mov_b64 exec, s[84:85]                                   // 000000004CA0: BEFE0154
	s_mul_i32 s60, 4, s6                                       // 000000004CA4: 923C0684
	s_cmp_lt_i32 2, s73                                        // 000000004CA8: BF044982
	s_cselect_b32 s60, s60, 0                                  // 000000004CAC: 853C803C
	v_add_u32_e32 v1, s60, v1                                  // 000000004CB0: 6802023C
	v_add_u32_e32 v2, s60, v2                                  // 000000004CB4: 6804043C
	v_add_u32_e32 v3, s60, v3                                  // 000000004CB8: 6806063C
	v_add_u32_e32 v4, s60, v4                                  // 000000004CBC: 6808083C
	v_mov_b32_e32 v192, 0                                      // 000000004CC0: 7F800280
	s_mov_b64 exec, s[86:87]                                   // 000000004CC4: BEFE0156
	buffer_load_dword v192, v1, s[12:15], 0 idxen              // 000000004CC8: E0502000 8003C001
	s_mov_b64 exec, s[84:85]                                   // 000000004CD0: BEFE0154
	v_mov_b32_e32 v193, 0                                      // 000000004CD4: 7F820280
	s_mov_b64 exec, s[86:87]                                   // 000000004CD8: BEFE0156
	buffer_load_dword v193, v2, s[12:15], 0 idxen              // 000000004CDC: E0502000 8003C102
	s_mov_b64 exec, s[84:85]                                   // 000000004CE4: BEFE0154
	v_mov_b32_e32 v194, 0                                      // 000000004CE8: 7F840280
	s_mov_b64 exec, s[86:87]                                   // 000000004CEC: BEFE0156
	buffer_load_dword v194, v3, s[12:15], 0 idxen              // 000000004CF0: E0502000 8003C203
	s_mov_b64 exec, s[84:85]                                   // 000000004CF8: BEFE0154
	v_mov_b32_e32 v195, 0                                      // 000000004CFC: 7F860280
	s_mov_b64 exec, s[86:87]                                   // 000000004D00: BEFE0156
	buffer_load_dword v195, v4, s[12:15], 0 idxen              // 000000004D04: E0502000 8003C304
	s_mov_b64 exec, s[84:85]                                   // 000000004D0C: BEFE0154
	s_mul_i32 s60, 4, s6                                       // 000000004D10: 923C0684
	s_cmp_lt_i32 2, s73                                        // 000000004D14: BF044982
	s_cselect_b32 s60, s60, 0                                  // 000000004D18: 853C803C
	v_add_u32_e32 v1, s60, v1                                  // 000000004D1C: 6802023C
	v_add_u32_e32 v2, s60, v2                                  // 000000004D20: 6804043C
	v_add_u32_e32 v3, s60, v3                                  // 000000004D24: 6806063C
	v_add_u32_e32 v4, s60, v4                                  // 000000004D28: 6808083C
	v_mov_b32_e32 v196, 0                                      // 000000004D2C: 7F880280
	s_mov_b64 exec, s[86:87]                                   // 000000004D30: BEFE0156
	buffer_load_dword v196, v1, s[12:15], 0 idxen              // 000000004D34: E0502000 8003C401
	s_mov_b64 exec, s[84:85]                                   // 000000004D3C: BEFE0154
	v_mov_b32_e32 v197, 0                                      // 000000004D40: 7F8A0280
	s_mov_b64 exec, s[86:87]                                   // 000000004D44: BEFE0156
	buffer_load_dword v197, v2, s[12:15], 0 idxen              // 000000004D48: E0502000 8003C502
	s_mov_b64 exec, s[84:85]                                   // 000000004D50: BEFE0154
	v_mov_b32_e32 v198, 0                                      // 000000004D54: 7F8C0280
	s_mov_b64 exec, s[86:87]                                   // 000000004D58: BEFE0156
	buffer_load_dword v198, v3, s[12:15], 0 idxen              // 000000004D5C: E0502000 8003C603
	s_mov_b64 exec, s[84:85]                                   // 000000004D64: BEFE0154
	v_mov_b32_e32 v199, 0                                      // 000000004D68: 7F8E0280
	s_mov_b64 exec, s[86:87]                                   // 000000004D6C: BEFE0156
	buffer_load_dword v199, v4, s[12:15], 0 idxen              // 000000004D70: E0502000 8003C704
	s_mov_b64 exec, s[84:85]                                   // 000000004D78: BEFE0154
	s_mul_i32 s60, 4, s6                                       // 000000004D7C: 923C0684
	s_cmp_lt_i32 3, s73                                        // 000000004D80: BF044983
	s_cselect_b32 s60, s60, 0                                  // 000000004D84: 853C803C
	v_add_u32_e32 v1, s60, v1                                  // 000000004D88: 6802023C
	v_add_u32_e32 v2, s60, v2                                  // 000000004D8C: 6804043C
	v_add_u32_e32 v3, s60, v3                                  // 000000004D90: 6806063C
	v_add_u32_e32 v4, s60, v4                                  // 000000004D94: 6808083C
	s_waitcnt vmcnt(32) lgkmcnt(0)                             // 000000004D98: BF8C8070
	s_barrier                                                  // 000000004D9C: BF8A0000
	s_cmp_lt_i32 0, s73                                        // 000000004DA0: BF044980
	s_cbranch_scc1 label_03FA                                  // 000000004DA4: BF850010
	v_mov_b32_e32 v152, 0                                      // 000000004DA8: 7F300280
	v_mov_b32_e32 v153, 0                                      // 000000004DAC: 7F320280
	v_mov_b32_e32 v154, 0                                      // 000000004DB0: 7F340280
	v_mov_b32_e32 v155, 0                                      // 000000004DB4: 7F360280
	v_mov_b32_e32 v156, 0                                      // 000000004DB8: 7F380280
	v_mov_b32_e32 v157, 0                                      // 000000004DBC: 7F3A0280
	v_mov_b32_e32 v158, 0                                      // 000000004DC0: 7F3C0280
	v_mov_b32_e32 v159, 0                                      // 000000004DC4: 7F3E0280
	v_mov_b32_e32 v160, 0                                      // 000000004DC8: 7F400280
	v_mov_b32_e32 v161, 0                                      // 000000004DCC: 7F420280
	v_mov_b32_e32 v162, 0                                      // 000000004DD0: 7F440280
	v_mov_b32_e32 v163, 0                                      // 000000004DD4: 7F460280
	v_mov_b32_e32 v164, 0                                      // 000000004DD8: 7F480280
	v_mov_b32_e32 v165, 0                                      // 000000004DDC: 7F4A0280
	v_mov_b32_e32 v166, 0                                      // 000000004DE0: 7F4C0280
	v_mov_b32_e32 v167, 0                                      // 000000004DE4: 7F4E0280

0000000000004de8 <label_03FA>:
	v_perm_b32 v200, v153, v152, s63                           // 000000004DE8: D1ED00C8 00FF3199
	v_perm_b32 v201, v153, v152, s64                           // 000000004DF0: D1ED00C9 01033199
	v_perm_b32 v202, v155, v154, s63                           // 000000004DF8: D1ED00CA 00FF359B
	v_perm_b32 v203, v155, v154, s64                           // 000000004E00: D1ED00CB 0103359B
	v_perm_b32 v204, v157, v156, s63                           // 000000004E08: D1ED00CC 00FF399D
	v_perm_b32 v205, v157, v156, s64                           // 000000004E10: D1ED00CD 0103399D
	v_perm_b32 v206, v159, v158, s63                           // 000000004E18: D1ED00CE 00FF3D9F
	v_perm_b32 v207, v159, v158, s64                           // 000000004E20: D1ED00CF 01033D9F
	v_perm_b32 v208, v161, v160, s63                           // 000000004E28: D1ED00D0 00FF41A1
	v_perm_b32 v209, v161, v160, s64                           // 000000004E30: D1ED00D1 010341A1
	v_perm_b32 v210, v163, v162, s63                           // 000000004E38: D1ED00D2 00FF45A3
	v_perm_b32 v211, v163, v162, s64                           // 000000004E40: D1ED00D3 010345A3
	v_perm_b32 v212, v165, v164, s63                           // 000000004E48: D1ED00D4 00FF49A5
	v_perm_b32 v213, v165, v164, s64                           // 000000004E50: D1ED00D5 010349A5
	v_perm_b32 v214, v167, v166, s63                           // 000000004E58: D1ED00D6 00FF4DA7
	v_perm_b32 v215, v167, v166, s64                           // 000000004E60: D1ED00D7 01034DA7
	ds_write_b32 v13, v200 offset:17408                        // 000000004E68: D81A4400 0000C80D
	ds_write_b32 v13, v201 offset:18464                        // 000000004E70: D81A4820 0000C90D
	ds_write_b32 v13, v202 offset:17536                        // 000000004E78: D81A4480 0000CA0D
	ds_write_b32 v13, v203 offset:18592                        // 000000004E80: D81A48A0 0000CB0D
	ds_write_b32 v13, v204 offset:21760                        // 000000004E88: D81A5500 0000CC0D
	ds_write_b32 v13, v205 offset:22816                        // 000000004E90: D81A5920 0000CD0D
	ds_write_b32 v13, v206 offset:21888                        // 000000004E98: D81A5580 0000CE0D
	ds_write_b32 v13, v207 offset:22944                        // 000000004EA0: D81A59A0 0000CF0D
	ds_write_b32 v13, v208 offset:26112                        // 000000004EA8: D81A6600 0000D00D
	ds_write_b32 v13, v209 offset:27168                        // 000000004EB0: D81A6A20 0000D10D
	ds_write_b32 v13, v210 offset:26240                        // 000000004EB8: D81A6680 0000D20D
	ds_write_b32 v13, v211 offset:27296                        // 000000004EC0: D81A6AA0 0000D30D
	ds_write_b32 v13, v212 offset:30464                        // 000000004EC8: D81A7700 0000D40D
	ds_write_b32 v13, v213 offset:31520                        // 000000004ED0: D81A7B20 0000D50D
	ds_write_b32 v13, v214 offset:30592                        // 000000004ED8: D81A7780 0000D60D
	ds_write_b32 v13, v215 offset:31648                        // 000000004EE0: D81A7BA0 0000D70D
	ds_write_b32 v11, v152                                     // 000000004EE8: D81A0000 0000980B
	ds_write_b32 v11, v153 offset:1056                         // 000000004EF0: D81A0420 0000990B
	ds_write_b32 v11, v154 offset:128                          // 000000004EF8: D81A0080 00009A0B
	ds_write_b32 v11, v155 offset:1184                         // 000000004F00: D81A04A0 00009B0B
	ds_write_b32 v11, v156 offset:4352                         // 000000004F08: D81A1100 00009C0B
	ds_write_b32 v11, v157 offset:5408                         // 000000004F10: D81A1520 00009D0B
	ds_write_b32 v11, v158 offset:4480                         // 000000004F18: D81A1180 00009E0B
	ds_write_b32 v11, v159 offset:5536                         // 000000004F20: D81A15A0 00009F0B
	ds_write_b32 v11, v160 offset:8704                         // 000000004F28: D81A2200 0000A00B
	ds_write_b32 v11, v161 offset:9760                         // 000000004F30: D81A2620 0000A10B
	ds_write_b32 v11, v162 offset:8832                         // 000000004F38: D81A2280 0000A20B
	ds_write_b32 v11, v163 offset:9888                         // 000000004F40: D81A26A0 0000A30B
	ds_write_b32 v11, v164 offset:13056                        // 000000004F48: D81A3300 0000A40B
	ds_write_b32 v11, v165 offset:14112                        // 000000004F50: D81A3720 0000A50B
	ds_write_b32 v11, v166 offset:13184                        // 000000004F58: D81A3380 0000A60B
	ds_write_b32 v11, v167 offset:14240                        // 000000004F60: D81A37A0 0000A70B
	v_mov_b32_e32 v152, 0                                      // 000000004F68: 7F300280
	s_mov_b64 exec, s[86:87]                                   // 000000004F6C: BEFE0156
	buffer_load_dword v152, v248, s[16:19], 0 idxen            // 000000004F70: E0502000 800498F8
	s_mov_b64 exec, s[84:85]                                   // 000000004F78: BEFE0154
	v_mov_b32_e32 v153, 0                                      // 000000004F7C: 7F320280
	s_mov_b64 exec, s[86:87]                                   // 000000004F80: BEFE0156
	buffer_load_dword v153, v249, s[16:19], 0 idxen            // 000000004F84: E0502000 800499F9
	s_mov_b64 exec, s[84:85]                                   // 000000004F8C: BEFE0154
	v_mov_b32_e32 v154, 0                                      // 000000004F90: 7F340280
	s_mov_b64 exec, s[86:87]                                   // 000000004F94: BEFE0156
	buffer_load_dword v154, v250, s[16:19], 0 idxen            // 000000004F98: E0502000 80049AFA
	s_mov_b64 exec, s[84:85]                                   // 000000004FA0: BEFE0154
	v_mov_b32_e32 v155, 0                                      // 000000004FA4: 7F360280
	s_mov_b64 exec, s[86:87]                                   // 000000004FA8: BEFE0156
	buffer_load_dword v155, v251, s[16:19], 0 idxen            // 000000004FAC: E0502000 80049BFB
	s_mov_b64 exec, s[84:85]                                   // 000000004FB4: BEFE0154
	s_mul_i32 s60, 4, s7                                       // 000000004FB8: 923C0784
	s_cmp_lt_i32 0, s73                                        // 000000004FBC: BF044980
	s_cselect_b32 s60, s60, 0                                  // 000000004FC0: 853C803C
	v_add_u32_e32 v248, s60, v248                              // 000000004FC4: 69F1F03C
	v_add_u32_e32 v249, s60, v249                              // 000000004FC8: 69F3F23C
	v_add_u32_e32 v250, s60, v250                              // 000000004FCC: 69F5F43C
	v_add_u32_e32 v251, s60, v251                              // 000000004FD0: 69F7F63C
	v_mov_b32_e32 v156, 0                                      // 000000004FD4: 7F380280
	s_mov_b64 exec, s[86:87]                                   // 000000004FD8: BEFE0156
	buffer_load_dword v156, v248, s[16:19], 0 idxen            // 000000004FDC: E0502000 80049CF8
	s_mov_b64 exec, s[84:85]                                   // 000000004FE4: BEFE0154
	v_mov_b32_e32 v157, 0                                      // 000000004FE8: 7F3A0280
	s_mov_b64 exec, s[86:87]                                   // 000000004FEC: BEFE0156
	buffer_load_dword v157, v249, s[16:19], 0 idxen            // 000000004FF0: E0502000 80049DF9
	s_mov_b64 exec, s[84:85]                                   // 000000004FF8: BEFE0154
	v_mov_b32_e32 v158, 0                                      // 000000004FFC: 7F3C0280
	s_mov_b64 exec, s[86:87]                                   // 000000005000: BEFE0156
	buffer_load_dword v158, v250, s[16:19], 0 idxen            // 000000005004: E0502000 80049EFA
	s_mov_b64 exec, s[84:85]                                   // 00000000500C: BEFE0154
	v_mov_b32_e32 v159, 0                                      // 000000005010: 7F3E0280
	s_mov_b64 exec, s[86:87]                                   // 000000005014: BEFE0156
	buffer_load_dword v159, v251, s[16:19], 0 idxen            // 000000005018: E0502000 80049FFB
	s_mov_b64 exec, s[84:85]                                   // 000000005020: BEFE0154
	s_mul_i32 s60, 4, s7                                       // 000000005024: 923C0784
	s_cmp_lt_i32 0, s73                                        // 000000005028: BF044980
	s_cselect_b32 s60, s60, 0                                  // 00000000502C: 853C803C
	v_add_u32_e32 v248, s60, v248                              // 000000005030: 69F1F03C
	v_add_u32_e32 v249, s60, v249                              // 000000005034: 69F3F23C
	v_add_u32_e32 v250, s60, v250                              // 000000005038: 69F5F43C
	v_add_u32_e32 v251, s60, v251                              // 00000000503C: 69F7F63C
	v_mov_b32_e32 v160, 0                                      // 000000005040: 7F400280
	s_mov_b64 exec, s[86:87]                                   // 000000005044: BEFE0156
	buffer_load_dword v160, v248, s[16:19], 0 idxen            // 000000005048: E0502000 8004A0F8
	s_mov_b64 exec, s[84:85]                                   // 000000005050: BEFE0154
	v_mov_b32_e32 v161, 0                                      // 000000005054: 7F420280
	s_mov_b64 exec, s[86:87]                                   // 000000005058: BEFE0156
	buffer_load_dword v161, v249, s[16:19], 0 idxen            // 00000000505C: E0502000 8004A1F9
	s_mov_b64 exec, s[84:85]                                   // 000000005064: BEFE0154
	v_mov_b32_e32 v162, 0                                      // 000000005068: 7F440280
	s_mov_b64 exec, s[86:87]                                   // 00000000506C: BEFE0156
	buffer_load_dword v162, v250, s[16:19], 0 idxen            // 000000005070: E0502000 8004A2FA
	s_mov_b64 exec, s[84:85]                                   // 000000005078: BEFE0154
	v_mov_b32_e32 v163, 0                                      // 00000000507C: 7F460280
	s_mov_b64 exec, s[86:87]                                   // 000000005080: BEFE0156
	buffer_load_dword v163, v251, s[16:19], 0 idxen            // 000000005084: E0502000 8004A3FB
	s_mov_b64 exec, s[84:85]                                   // 00000000508C: BEFE0154
	s_mul_i32 s60, 4, s7                                       // 000000005090: 923C0784
	s_cmp_lt_i32 0, s73                                        // 000000005094: BF044980
	s_cselect_b32 s60, s60, 0                                  // 000000005098: 853C803C
	v_add_u32_e32 v248, s60, v248                              // 00000000509C: 69F1F03C
	v_add_u32_e32 v249, s60, v249                              // 0000000050A0: 69F3F23C
	v_add_u32_e32 v250, s60, v250                              // 0000000050A4: 69F5F43C
	v_add_u32_e32 v251, s60, v251                              // 0000000050A8: 69F7F63C
	v_mov_b32_e32 v164, 0                                      // 0000000050AC: 7F480280
	s_mov_b64 exec, s[86:87]                                   // 0000000050B0: BEFE0156
	buffer_load_dword v164, v248, s[16:19], 0 idxen            // 0000000050B4: E0502000 8004A4F8
	s_mov_b64 exec, s[84:85]                                   // 0000000050BC: BEFE0154
	v_mov_b32_e32 v165, 0                                      // 0000000050C0: 7F4A0280
	s_mov_b64 exec, s[86:87]                                   // 0000000050C4: BEFE0156
	buffer_load_dword v165, v249, s[16:19], 0 idxen            // 0000000050C8: E0502000 8004A5F9
	s_mov_b64 exec, s[84:85]                                   // 0000000050D0: BEFE0154
	v_mov_b32_e32 v166, 0                                      // 0000000050D4: 7F4C0280
	s_mov_b64 exec, s[86:87]                                   // 0000000050D8: BEFE0156
	buffer_load_dword v166, v250, s[16:19], 0 idxen            // 0000000050DC: E0502000 8004A6FA
	s_mov_b64 exec, s[84:85]                                   // 0000000050E4: BEFE0154
	v_mov_b32_e32 v167, 0                                      // 0000000050E8: 7F4E0280
	s_mov_b64 exec, s[86:87]                                   // 0000000050EC: BEFE0156
	buffer_load_dword v167, v251, s[16:19], 0 idxen            // 0000000050F0: E0502000 8004A7FB
	s_mov_b64 exec, s[84:85]                                   // 0000000050F8: BEFE0154
	s_mul_i32 s60, 4, s7                                       // 0000000050FC: 923C0784
	s_cmp_lt_i32 1, s73                                        // 000000005100: BF044981
	s_cselect_b32 s60, s60, 0                                  // 000000005104: 853C803C
	v_add_u32_e32 v248, s60, v248                              // 000000005108: 69F1F03C
	v_add_u32_e32 v249, s60, v249                              // 00000000510C: 69F3F23C
	v_add_u32_e32 v250, s60, v250                              // 000000005110: 69F5F43C
	v_add_u32_e32 v251, s60, v251                              // 000000005114: 69F7F63C
	s_waitcnt lgkmcnt(0)                                       // 000000005118: BF8CC07F
	s_barrier                                                  // 00000000511C: BF8A0000
	ds_read_b128 a[48:51], v23 offset:17408                    // 000000005120: DBFE4400 30000017
	ds_read_b128 a[52:55], v23 offset:17664                    // 000000005128: DBFE4500 34000017
	ds_read_b128 a[56:59], v23 offset:26112                    // 000000005130: DBFE6600 38000017
	ds_read_b128 a[60:63], v23 offset:26368                    // 000000005138: DBFE6700 3C000017
	ds_read_b128 a[0:3], v22                                   // 000000005140: DBFE0000 00000016
	ds_read_b128 a[4:7], v22 offset:512                        // 000000005148: DBFE0200 04000016
	ds_read_b128 a[8:11], v22 offset:2176                      // 000000005150: DBFE0880 08000016
	ds_read_b128 a[12:15], v22 offset:2688                     // 000000005158: DBFE0A80 0C000016
	s_waitcnt vmcnt(32) lgkmcnt(0)                             // 000000005160: BF8C8070
	s_barrier                                                  // 000000005164: BF8A0000
	s_cmp_lt_i32 1, s73                                        // 000000005168: BF044981
	s_cbranch_scc1 label_04EC                                  // 00000000516C: BF850010
	v_mov_b32_e32 v168, 0                                      // 000000005170: 7F500280
	v_mov_b32_e32 v169, 0                                      // 000000005174: 7F520280
	v_mov_b32_e32 v170, 0                                      // 000000005178: 7F540280
	v_mov_b32_e32 v171, 0                                      // 00000000517C: 7F560280
	v_mov_b32_e32 v172, 0                                      // 000000005180: 7F580280
	v_mov_b32_e32 v173, 0                                      // 000000005184: 7F5A0280
	v_mov_b32_e32 v174, 0                                      // 000000005188: 7F5C0280
	v_mov_b32_e32 v175, 0                                      // 00000000518C: 7F5E0280
	v_mov_b32_e32 v176, 0                                      // 000000005190: 7F600280
	v_mov_b32_e32 v177, 0                                      // 000000005194: 7F620280
	v_mov_b32_e32 v178, 0                                      // 000000005198: 7F640280
	v_mov_b32_e32 v179, 0                                      // 00000000519C: 7F660280
	v_mov_b32_e32 v180, 0                                      // 0000000051A0: 7F680280
	v_mov_b32_e32 v181, 0                                      // 0000000051A4: 7F6A0280
	v_mov_b32_e32 v182, 0                                      // 0000000051A8: 7F6C0280
	v_mov_b32_e32 v183, 0                                      // 0000000051AC: 7F6E0280

00000000000051b0 <label_04EC>:
	v_perm_b32 v200, v169, v168, s63                           // 0000000051B0: D1ED00C8 00FF51A9
	v_perm_b32 v201, v169, v168, s64                           // 0000000051B8: D1ED00C9 010351A9
	v_perm_b32 v202, v171, v170, s63                           // 0000000051C0: D1ED00CA 00FF55AB
	v_perm_b32 v203, v171, v170, s64                           // 0000000051C8: D1ED00CB 010355AB
	v_perm_b32 v204, v173, v172, s63                           // 0000000051D0: D1ED00CC 00FF59AD
	v_perm_b32 v205, v173, v172, s64                           // 0000000051D8: D1ED00CD 010359AD
	v_perm_b32 v206, v175, v174, s63                           // 0000000051E0: D1ED00CE 00FF5DAF
	v_perm_b32 v207, v175, v174, s64                           // 0000000051E8: D1ED00CF 01035DAF
	v_perm_b32 v208, v177, v176, s63                           // 0000000051F0: D1ED00D0 00FF61B1
	v_perm_b32 v209, v177, v176, s64                           // 0000000051F8: D1ED00D1 010361B1
	v_perm_b32 v210, v179, v178, s63                           // 000000005200: D1ED00D2 00FF65B3
	v_perm_b32 v211, v179, v178, s64                           // 000000005208: D1ED00D3 010365B3
	v_perm_b32 v212, v181, v180, s63                           // 000000005210: D1ED00D4 00FF69B5
	v_perm_b32 v213, v181, v180, s64                           // 000000005218: D1ED00D5 010369B5
	v_perm_b32 v214, v183, v182, s63                           // 000000005220: D1ED00D6 00FF6DB7
	v_perm_b32 v215, v183, v182, s64                           // 000000005228: D1ED00D7 01036DB7
	ds_write_b32 v13, v200 offset:17408                        // 000000005230: D81A4400 0000C80D
	ds_write_b32 v13, v201 offset:18464                        // 000000005238: D81A4820 0000C90D
	ds_write_b32 v13, v202 offset:17536                        // 000000005240: D81A4480 0000CA0D
	ds_write_b32 v13, v203 offset:18592                        // 000000005248: D81A48A0 0000CB0D
	ds_write_b32 v13, v204 offset:21760                        // 000000005250: D81A5500 0000CC0D
	ds_write_b32 v13, v205 offset:22816                        // 000000005258: D81A5920 0000CD0D
	ds_write_b32 v13, v206 offset:21888                        // 000000005260: D81A5580 0000CE0D
	ds_write_b32 v13, v207 offset:22944                        // 000000005268: D81A59A0 0000CF0D
	ds_write_b32 v13, v208 offset:26112                        // 000000005270: D81A6600 0000D00D
	ds_write_b32 v13, v209 offset:27168                        // 000000005278: D81A6A20 0000D10D
	ds_write_b32 v13, v210 offset:26240                        // 000000005280: D81A6680 0000D20D
	ds_write_b32 v13, v211 offset:27296                        // 000000005288: D81A6AA0 0000D30D
	ds_write_b32 v13, v212 offset:30464                        // 000000005290: D81A7700 0000D40D
	ds_write_b32 v13, v213 offset:31520                        // 000000005298: D81A7B20 0000D50D
	ds_write_b32 v13, v214 offset:30592                        // 0000000052A0: D81A7780 0000D60D
	ds_write_b32 v13, v215 offset:31648                        // 0000000052A8: D81A7BA0 0000D70D
	ds_write_b32 v11, v168                                     // 0000000052B0: D81A0000 0000A80B
	ds_write_b32 v11, v169 offset:1056                         // 0000000052B8: D81A0420 0000A90B
	ds_write_b32 v11, v170 offset:128                          // 0000000052C0: D81A0080 0000AA0B
	ds_write_b32 v11, v171 offset:1184                         // 0000000052C8: D81A04A0 0000AB0B
	ds_write_b32 v11, v172 offset:4352                         // 0000000052D0: D81A1100 0000AC0B
	ds_write_b32 v11, v173 offset:5408                         // 0000000052D8: D81A1520 0000AD0B
	ds_write_b32 v11, v174 offset:4480                         // 0000000052E0: D81A1180 0000AE0B
	ds_write_b32 v11, v175 offset:5536                         // 0000000052E8: D81A15A0 0000AF0B
	ds_write_b32 v11, v176 offset:8704                         // 0000000052F0: D81A2200 0000B00B
	ds_write_b32 v11, v177 offset:9760                         // 0000000052F8: D81A2620 0000B10B
	ds_write_b32 v11, v178 offset:8832                         // 000000005300: D81A2280 0000B20B
	ds_write_b32 v11, v179 offset:9888                         // 000000005308: D81A26A0 0000B30B
	ds_write_b32 v11, v180 offset:13056                        // 000000005310: D81A3300 0000B40B
	ds_write_b32 v11, v181 offset:14112                        // 000000005318: D81A3720 0000B50B
	ds_write_b32 v11, v182 offset:13184                        // 000000005320: D81A3380 0000B60B
	ds_write_b32 v11, v183 offset:14240                        // 000000005328: D81A37A0 0000B70B
	v_mov_b32_e32 v168, 0                                      // 000000005330: 7F500280
	s_mov_b64 exec, s[86:87]                                   // 000000005334: BEFE0156
	buffer_load_dword v168, v248, s[16:19], 0 idxen            // 000000005338: E0502000 8004A8F8
	s_mov_b64 exec, s[84:85]                                   // 000000005340: BEFE0154
	v_mov_b32_e32 v169, 0                                      // 000000005344: 7F520280
	s_mov_b64 exec, s[86:87]                                   // 000000005348: BEFE0156
	buffer_load_dword v169, v249, s[16:19], 0 idxen            // 00000000534C: E0502000 8004A9F9
	s_mov_b64 exec, s[84:85]                                   // 000000005354: BEFE0154
	v_mov_b32_e32 v170, 0                                      // 000000005358: 7F540280
	s_mov_b64 exec, s[86:87]                                   // 00000000535C: BEFE0156
	buffer_load_dword v170, v250, s[16:19], 0 idxen            // 000000005360: E0502000 8004AAFA
	s_mov_b64 exec, s[84:85]                                   // 000000005368: BEFE0154
	v_mov_b32_e32 v171, 0                                      // 00000000536C: 7F560280
	s_mov_b64 exec, s[86:87]                                   // 000000005370: BEFE0156
	buffer_load_dword v171, v251, s[16:19], 0 idxen            // 000000005374: E0502000 8004ABFB
	s_mov_b64 exec, s[84:85]                                   // 00000000537C: BEFE0154
	s_mul_i32 s60, 4, s7                                       // 000000005380: 923C0784
	s_cmp_lt_i32 1, s73                                        // 000000005384: BF044981
	s_cselect_b32 s60, s60, 0                                  // 000000005388: 853C803C
	v_add_u32_e32 v248, s60, v248                              // 00000000538C: 69F1F03C
	v_add_u32_e32 v249, s60, v249                              // 000000005390: 69F3F23C
	v_add_u32_e32 v250, s60, v250                              // 000000005394: 69F5F43C
	v_add_u32_e32 v251, s60, v251                              // 000000005398: 69F7F63C
	v_mov_b32_e32 v172, 0                                      // 00000000539C: 7F580280
	s_mov_b64 exec, s[86:87]                                   // 0000000053A0: BEFE0156
	buffer_load_dword v172, v248, s[16:19], 0 idxen            // 0000000053A4: E0502000 8004ACF8
	s_mov_b64 exec, s[84:85]                                   // 0000000053AC: BEFE0154
	v_mov_b32_e32 v173, 0                                      // 0000000053B0: 7F5A0280
	s_mov_b64 exec, s[86:87]                                   // 0000000053B4: BEFE0156
	buffer_load_dword v173, v249, s[16:19], 0 idxen            // 0000000053B8: E0502000 8004ADF9
	s_mov_b64 exec, s[84:85]                                   // 0000000053C0: BEFE0154
	v_mov_b32_e32 v174, 0                                      // 0000000053C4: 7F5C0280
	s_mov_b64 exec, s[86:87]                                   // 0000000053C8: BEFE0156
	buffer_load_dword v174, v250, s[16:19], 0 idxen            // 0000000053CC: E0502000 8004AEFA
	s_mov_b64 exec, s[84:85]                                   // 0000000053D4: BEFE0154
	v_mov_b32_e32 v175, 0                                      // 0000000053D8: 7F5E0280
	s_mov_b64 exec, s[86:87]                                   // 0000000053DC: BEFE0156
	buffer_load_dword v175, v251, s[16:19], 0 idxen            // 0000000053E0: E0502000 8004AFFB
	s_mov_b64 exec, s[84:85]                                   // 0000000053E8: BEFE0154
	s_mul_i32 s60, 4, s7                                       // 0000000053EC: 923C0784
	s_cmp_lt_i32 1, s73                                        // 0000000053F0: BF044981
	s_cselect_b32 s60, s60, 0                                  // 0000000053F4: 853C803C
	v_add_u32_e32 v248, s60, v248                              // 0000000053F8: 69F1F03C
	v_add_u32_e32 v249, s60, v249                              // 0000000053FC: 69F3F23C
	v_add_u32_e32 v250, s60, v250                              // 000000005400: 69F5F43C
	v_add_u32_e32 v251, s60, v251                              // 000000005404: 69F7F63C
	v_mov_b32_e32 v176, 0                                      // 000000005408: 7F600280
	s_mov_b64 exec, s[86:87]                                   // 00000000540C: BEFE0156
	buffer_load_dword v176, v248, s[16:19], 0 idxen            // 000000005410: E0502000 8004B0F8
	s_mov_b64 exec, s[84:85]                                   // 000000005418: BEFE0154
	v_mov_b32_e32 v177, 0                                      // 00000000541C: 7F620280
	s_mov_b64 exec, s[86:87]                                   // 000000005420: BEFE0156
	buffer_load_dword v177, v249, s[16:19], 0 idxen            // 000000005424: E0502000 8004B1F9
	s_mov_b64 exec, s[84:85]                                   // 00000000542C: BEFE0154
	v_mov_b32_e32 v178, 0                                      // 000000005430: 7F640280
	s_mov_b64 exec, s[86:87]                                   // 000000005434: BEFE0156
	buffer_load_dword v178, v250, s[16:19], 0 idxen            // 000000005438: E0502000 8004B2FA
	s_mov_b64 exec, s[84:85]                                   // 000000005440: BEFE0154
	v_mov_b32_e32 v179, 0                                      // 000000005444: 7F660280
	s_mov_b64 exec, s[86:87]                                   // 000000005448: BEFE0156
	buffer_load_dword v179, v251, s[16:19], 0 idxen            // 00000000544C: E0502000 8004B3FB
	s_mov_b64 exec, s[84:85]                                   // 000000005454: BEFE0154
	s_mul_i32 s60, 4, s7                                       // 000000005458: 923C0784
	s_cmp_lt_i32 1, s73                                        // 00000000545C: BF044981
	s_cselect_b32 s60, s60, 0                                  // 000000005460: 853C803C
	v_add_u32_e32 v248, s60, v248                              // 000000005464: 69F1F03C
	v_add_u32_e32 v249, s60, v249                              // 000000005468: 69F3F23C
	v_add_u32_e32 v250, s60, v250                              // 00000000546C: 69F5F43C
	v_add_u32_e32 v251, s60, v251                              // 000000005470: 69F7F63C
	v_mov_b32_e32 v180, 0                                      // 000000005474: 7F680280
	s_mov_b64 exec, s[86:87]                                   // 000000005478: BEFE0156
	buffer_load_dword v180, v248, s[16:19], 0 idxen            // 00000000547C: E0502000 8004B4F8
	s_mov_b64 exec, s[84:85]                                   // 000000005484: BEFE0154
	v_mov_b32_e32 v181, 0                                      // 000000005488: 7F6A0280
	s_mov_b64 exec, s[86:87]                                   // 00000000548C: BEFE0156
	buffer_load_dword v181, v249, s[16:19], 0 idxen            // 000000005490: E0502000 8004B5F9
	s_mov_b64 exec, s[84:85]                                   // 000000005498: BEFE0154
	v_mov_b32_e32 v182, 0                                      // 00000000549C: 7F6C0280
	s_mov_b64 exec, s[86:87]                                   // 0000000054A0: BEFE0156
	buffer_load_dword v182, v250, s[16:19], 0 idxen            // 0000000054A4: E0502000 8004B6FA
	s_mov_b64 exec, s[84:85]                                   // 0000000054AC: BEFE0154
	v_mov_b32_e32 v183, 0                                      // 0000000054B0: 7F6E0280
	s_mov_b64 exec, s[86:87]                                   // 0000000054B4: BEFE0156
	buffer_load_dword v183, v251, s[16:19], 0 idxen            // 0000000054B8: E0502000 8004B7FB
	s_mov_b64 exec, s[84:85]                                   // 0000000054C0: BEFE0154
	s_mul_i32 s60, 4, s7                                       // 0000000054C4: 923C0784
	s_cmp_lt_i32 2, s73                                        // 0000000054C8: BF044982
	s_cselect_b32 s60, s60, 0                                  // 0000000054CC: 853C803C
	v_add_u32_e32 v248, s60, v248                              // 0000000054D0: 69F1F03C
	v_add_u32_e32 v249, s60, v249                              // 0000000054D4: 69F3F23C
	v_add_u32_e32 v250, s60, v250                              // 0000000054D8: 69F5F43C
	v_add_u32_e32 v251, s60, v251                              // 0000000054DC: 69F7F63C
	s_waitcnt lgkmcnt(0)                                       // 0000000054E0: BF8CC07F
	s_barrier                                                  // 0000000054E4: BF8A0000
	ds_read_b128 a[64:67], v23 offset:17408                    // 0000000054E8: DBFE4400 40000017
	ds_read_b128 a[68:71], v23 offset:17664                    // 0000000054F0: DBFE4500 44000017
	ds_read_b128 a[72:75], v23 offset:26112                    // 0000000054F8: DBFE6600 48000017
	ds_read_b128 a[76:79], v23 offset:26368                    // 000000005500: DBFE6700 4C000017
	ds_read_b128 a[16:19], v22                                 // 000000005508: DBFE0000 10000016
	ds_read_b128 a[20:23], v22 offset:512                      // 000000005510: DBFE0200 14000016
	ds_read_b128 a[24:27], v22 offset:2176                     // 000000005518: DBFE0880 18000016
	ds_read_b128 a[28:31], v22 offset:2688                     // 000000005520: DBFE0A80 1C000016
	s_waitcnt vmcnt(32) lgkmcnt(0)                             // 000000005528: BF8C8070
	s_barrier                                                  // 00000000552C: BF8A0000
	s_cmp_lt_i32 2, s73                                        // 000000005530: BF044982
	s_cbranch_scc1 label_05DE                                  // 000000005534: BF850010
	v_mov_b32_e32 v184, 0                                      // 000000005538: 7F700280
	v_mov_b32_e32 v185, 0                                      // 00000000553C: 7F720280
	v_mov_b32_e32 v186, 0                                      // 000000005540: 7F740280
	v_mov_b32_e32 v187, 0                                      // 000000005544: 7F760280
	v_mov_b32_e32 v188, 0                                      // 000000005548: 7F780280
	v_mov_b32_e32 v189, 0                                      // 00000000554C: 7F7A0280
	v_mov_b32_e32 v190, 0                                      // 000000005550: 7F7C0280
	v_mov_b32_e32 v191, 0                                      // 000000005554: 7F7E0280
	v_mov_b32_e32 v192, 0                                      // 000000005558: 7F800280
	v_mov_b32_e32 v193, 0                                      // 00000000555C: 7F820280
	v_mov_b32_e32 v194, 0                                      // 000000005560: 7F840280
	v_mov_b32_e32 v195, 0                                      // 000000005564: 7F860280
	v_mov_b32_e32 v196, 0                                      // 000000005568: 7F880280
	v_mov_b32_e32 v197, 0                                      // 00000000556C: 7F8A0280
	v_mov_b32_e32 v198, 0                                      // 000000005570: 7F8C0280
	v_mov_b32_e32 v199, 0                                      // 000000005574: 7F8E0280

0000000000005578 <label_05DE>:
	v_perm_b32 v200, v185, v184, s63                           // 000000005578: D1ED00C8 00FF71B9
	v_perm_b32 v201, v185, v184, s64                           // 000000005580: D1ED00C9 010371B9
	v_perm_b32 v202, v187, v186, s63                           // 000000005588: D1ED00CA 00FF75BB
	v_perm_b32 v203, v187, v186, s64                           // 000000005590: D1ED00CB 010375BB
	v_perm_b32 v204, v189, v188, s63                           // 000000005598: D1ED00CC 00FF79BD
	v_perm_b32 v205, v189, v188, s64                           // 0000000055A0: D1ED00CD 010379BD
	v_perm_b32 v206, v191, v190, s63                           // 0000000055A8: D1ED00CE 00FF7DBF
	v_perm_b32 v207, v191, v190, s64                           // 0000000055B0: D1ED00CF 01037DBF
	v_perm_b32 v208, v193, v192, s63                           // 0000000055B8: D1ED00D0 00FF81C1
	v_perm_b32 v209, v193, v192, s64                           // 0000000055C0: D1ED00D1 010381C1
	v_perm_b32 v210, v195, v194, s63                           // 0000000055C8: D1ED00D2 00FF85C3
	v_perm_b32 v211, v195, v194, s64                           // 0000000055D0: D1ED00D3 010385C3
	v_perm_b32 v212, v197, v196, s63                           // 0000000055D8: D1ED00D4 00FF89C5
	v_perm_b32 v213, v197, v196, s64                           // 0000000055E0: D1ED00D5 010389C5
	v_perm_b32 v214, v199, v198, s63                           // 0000000055E8: D1ED00D6 00FF8DC7
	v_perm_b32 v215, v199, v198, s64                           // 0000000055F0: D1ED00D7 01038DC7
	ds_write_b32 v13, v200 offset:17408                        // 0000000055F8: D81A4400 0000C80D
	ds_write_b32 v13, v201 offset:18464                        // 000000005600: D81A4820 0000C90D
	ds_write_b32 v13, v202 offset:17536                        // 000000005608: D81A4480 0000CA0D
	ds_write_b32 v13, v203 offset:18592                        // 000000005610: D81A48A0 0000CB0D
	ds_write_b32 v13, v204 offset:21760                        // 000000005618: D81A5500 0000CC0D
	ds_write_b32 v13, v205 offset:22816                        // 000000005620: D81A5920 0000CD0D
	ds_write_b32 v13, v206 offset:21888                        // 000000005628: D81A5580 0000CE0D
	ds_write_b32 v13, v207 offset:22944                        // 000000005630: D81A59A0 0000CF0D
	ds_write_b32 v13, v208 offset:26112                        // 000000005638: D81A6600 0000D00D
	ds_write_b32 v13, v209 offset:27168                        // 000000005640: D81A6A20 0000D10D
	ds_write_b32 v13, v210 offset:26240                        // 000000005648: D81A6680 0000D20D
	ds_write_b32 v13, v211 offset:27296                        // 000000005650: D81A6AA0 0000D30D
	ds_write_b32 v13, v212 offset:30464                        // 000000005658: D81A7700 0000D40D
	ds_write_b32 v13, v213 offset:31520                        // 000000005660: D81A7B20 0000D50D
	ds_write_b32 v13, v214 offset:30592                        // 000000005668: D81A7780 0000D60D
	ds_write_b32 v13, v215 offset:31648                        // 000000005670: D81A7BA0 0000D70D
	ds_write_b32 v11, v184                                     // 000000005678: D81A0000 0000B80B
	ds_write_b32 v11, v185 offset:1056                         // 000000005680: D81A0420 0000B90B
	ds_write_b32 v11, v186 offset:128                          // 000000005688: D81A0080 0000BA0B
	ds_write_b32 v11, v187 offset:1184                         // 000000005690: D81A04A0 0000BB0B
	ds_write_b32 v11, v188 offset:4352                         // 000000005698: D81A1100 0000BC0B
	ds_write_b32 v11, v189 offset:5408                         // 0000000056A0: D81A1520 0000BD0B
	ds_write_b32 v11, v190 offset:4480                         // 0000000056A8: D81A1180 0000BE0B
	ds_write_b32 v11, v191 offset:5536                         // 0000000056B0: D81A15A0 0000BF0B
	ds_write_b32 v11, v192 offset:8704                         // 0000000056B8: D81A2200 0000C00B
	ds_write_b32 v11, v193 offset:9760                         // 0000000056C0: D81A2620 0000C10B
	ds_write_b32 v11, v194 offset:8832                         // 0000000056C8: D81A2280 0000C20B
	ds_write_b32 v11, v195 offset:9888                         // 0000000056D0: D81A26A0 0000C30B
	ds_write_b32 v11, v196 offset:13056                        // 0000000056D8: D81A3300 0000C40B
	ds_write_b32 v11, v197 offset:14112                        // 0000000056E0: D81A3720 0000C50B
	ds_write_b32 v11, v198 offset:13184                        // 0000000056E8: D81A3380 0000C60B
	ds_write_b32 v11, v199 offset:14240                        // 0000000056F0: D81A37A0 0000C70B
	v_mov_b32_e32 v184, 0                                      // 0000000056F8: 7F700280
	s_mov_b64 exec, s[86:87]                                   // 0000000056FC: BEFE0156
	buffer_load_dword v184, v248, s[16:19], 0 idxen            // 000000005700: E0502000 8004B8F8
	s_mov_b64 exec, s[84:85]                                   // 000000005708: BEFE0154
	v_mov_b32_e32 v185, 0                                      // 00000000570C: 7F720280
	s_mov_b64 exec, s[86:87]                                   // 000000005710: BEFE0156
	buffer_load_dword v185, v249, s[16:19], 0 idxen            // 000000005714: E0502000 8004B9F9
	s_mov_b64 exec, s[84:85]                                   // 00000000571C: BEFE0154
	v_mov_b32_e32 v186, 0                                      // 000000005720: 7F740280
	s_mov_b64 exec, s[86:87]                                   // 000000005724: BEFE0156
	buffer_load_dword v186, v250, s[16:19], 0 idxen            // 000000005728: E0502000 8004BAFA
	s_mov_b64 exec, s[84:85]                                   // 000000005730: BEFE0154
	v_mov_b32_e32 v187, 0                                      // 000000005734: 7F760280
	s_mov_b64 exec, s[86:87]                                   // 000000005738: BEFE0156
	buffer_load_dword v187, v251, s[16:19], 0 idxen            // 00000000573C: E0502000 8004BBFB
	s_mov_b64 exec, s[84:85]                                   // 000000005744: BEFE0154
	s_mul_i32 s60, 4, s7                                       // 000000005748: 923C0784
	s_cmp_lt_i32 2, s73                                        // 00000000574C: BF044982
	s_cselect_b32 s60, s60, 0                                  // 000000005750: 853C803C
	v_add_u32_e32 v248, s60, v248                              // 000000005754: 69F1F03C
	v_add_u32_e32 v249, s60, v249                              // 000000005758: 69F3F23C
	v_add_u32_e32 v250, s60, v250                              // 00000000575C: 69F5F43C
	v_add_u32_e32 v251, s60, v251                              // 000000005760: 69F7F63C
	v_mov_b32_e32 v188, 0                                      // 000000005764: 7F780280
	s_mov_b64 exec, s[86:87]                                   // 000000005768: BEFE0156
	buffer_load_dword v188, v248, s[16:19], 0 idxen            // 00000000576C: E0502000 8004BCF8
	s_mov_b64 exec, s[84:85]                                   // 000000005774: BEFE0154
	v_mov_b32_e32 v189, 0                                      // 000000005778: 7F7A0280
	s_mov_b64 exec, s[86:87]                                   // 00000000577C: BEFE0156
	buffer_load_dword v189, v249, s[16:19], 0 idxen            // 000000005780: E0502000 8004BDF9
	s_mov_b64 exec, s[84:85]                                   // 000000005788: BEFE0154
	v_mov_b32_e32 v190, 0                                      // 00000000578C: 7F7C0280
	s_mov_b64 exec, s[86:87]                                   // 000000005790: BEFE0156
	buffer_load_dword v190, v250, s[16:19], 0 idxen            // 000000005794: E0502000 8004BEFA
	s_mov_b64 exec, s[84:85]                                   // 00000000579C: BEFE0154
	v_mov_b32_e32 v191, 0                                      // 0000000057A0: 7F7E0280
	s_mov_b64 exec, s[86:87]                                   // 0000000057A4: BEFE0156
	buffer_load_dword v191, v251, s[16:19], 0 idxen            // 0000000057A8: E0502000 8004BFFB
	s_mov_b64 exec, s[84:85]                                   // 0000000057B0: BEFE0154
	s_mul_i32 s60, 4, s7                                       // 0000000057B4: 923C0784
	s_cmp_lt_i32 2, s73                                        // 0000000057B8: BF044982
	s_cselect_b32 s60, s60, 0                                  // 0000000057BC: 853C803C
	v_add_u32_e32 v248, s60, v248                              // 0000000057C0: 69F1F03C
	v_add_u32_e32 v249, s60, v249                              // 0000000057C4: 69F3F23C
	v_add_u32_e32 v250, s60, v250                              // 0000000057C8: 69F5F43C
	v_add_u32_e32 v251, s60, v251                              // 0000000057CC: 69F7F63C
	v_mov_b32_e32 v192, 0                                      // 0000000057D0: 7F800280
	s_mov_b64 exec, s[86:87]                                   // 0000000057D4: BEFE0156
	buffer_load_dword v192, v248, s[16:19], 0 idxen            // 0000000057D8: E0502000 8004C0F8
	s_mov_b64 exec, s[84:85]                                   // 0000000057E0: BEFE0154
	v_mov_b32_e32 v193, 0                                      // 0000000057E4: 7F820280
	s_mov_b64 exec, s[86:87]                                   // 0000000057E8: BEFE0156
	buffer_load_dword v193, v249, s[16:19], 0 idxen            // 0000000057EC: E0502000 8004C1F9
	s_mov_b64 exec, s[84:85]                                   // 0000000057F4: BEFE0154
	v_mov_b32_e32 v194, 0                                      // 0000000057F8: 7F840280
	s_mov_b64 exec, s[86:87]                                   // 0000000057FC: BEFE0156
	buffer_load_dword v194, v250, s[16:19], 0 idxen            // 000000005800: E0502000 8004C2FA
	s_mov_b64 exec, s[84:85]                                   // 000000005808: BEFE0154
	v_mov_b32_e32 v195, 0                                      // 00000000580C: 7F860280
	s_mov_b64 exec, s[86:87]                                   // 000000005810: BEFE0156
	buffer_load_dword v195, v251, s[16:19], 0 idxen            // 000000005814: E0502000 8004C3FB
	s_mov_b64 exec, s[84:85]                                   // 00000000581C: BEFE0154
	s_mul_i32 s60, 4, s7                                       // 000000005820: 923C0784
	s_cmp_lt_i32 2, s73                                        // 000000005824: BF044982
	s_cselect_b32 s60, s60, 0                                  // 000000005828: 853C803C
	v_add_u32_e32 v248, s60, v248                              // 00000000582C: 69F1F03C
	v_add_u32_e32 v249, s60, v249                              // 000000005830: 69F3F23C
	v_add_u32_e32 v250, s60, v250                              // 000000005834: 69F5F43C
	v_add_u32_e32 v251, s60, v251                              // 000000005838: 69F7F63C
	v_mov_b32_e32 v196, 0                                      // 00000000583C: 7F880280
	s_mov_b64 exec, s[86:87]                                   // 000000005840: BEFE0156
	buffer_load_dword v196, v248, s[16:19], 0 idxen            // 000000005844: E0502000 8004C4F8
	s_mov_b64 exec, s[84:85]                                   // 00000000584C: BEFE0154
	v_mov_b32_e32 v197, 0                                      // 000000005850: 7F8A0280
	s_mov_b64 exec, s[86:87]                                   // 000000005854: BEFE0156
	buffer_load_dword v197, v249, s[16:19], 0 idxen            // 000000005858: E0502000 8004C5F9
	s_mov_b64 exec, s[84:85]                                   // 000000005860: BEFE0154
	v_mov_b32_e32 v198, 0                                      // 000000005864: 7F8C0280
	s_mov_b64 exec, s[86:87]                                   // 000000005868: BEFE0156
	buffer_load_dword v198, v250, s[16:19], 0 idxen            // 00000000586C: E0502000 8004C6FA
	s_mov_b64 exec, s[84:85]                                   // 000000005874: BEFE0154
	v_mov_b32_e32 v199, 0                                      // 000000005878: 7F8E0280
	s_mov_b64 exec, s[86:87]                                   // 00000000587C: BEFE0156
	buffer_load_dword v199, v251, s[16:19], 0 idxen            // 000000005880: E0502000 8004C7FB
	s_mov_b64 exec, s[84:85]                                   // 000000005888: BEFE0154
	s_mul_i32 s60, 4, s7                                       // 00000000588C: 923C0784
	s_cmp_lt_i32 3, s73                                        // 000000005890: BF044983
	s_cselect_b32 s60, s60, 0                                  // 000000005894: 853C803C
	v_add_u32_e32 v248, s60, v248                              // 000000005898: 69F1F03C
	v_add_u32_e32 v249, s60, v249                              // 00000000589C: 69F3F23C
	v_add_u32_e32 v250, s60, v250                              // 0000000058A0: 69F5F43C
	v_add_u32_e32 v251, s60, v251                              // 0000000058A4: 69F7F63C
	s_waitcnt lgkmcnt(0)                                       // 0000000058A8: BF8CC07F
	s_barrier                                                  // 0000000058AC: BF8A0000
	ds_read_b128 a[80:83], v23 offset:17408                    // 0000000058B0: DBFE4400 50000017
	ds_read_b128 a[84:87], v23 offset:17664                    // 0000000058B8: DBFE4500 54000017
	ds_read_b128 a[88:91], v23 offset:26112                    // 0000000058C0: DBFE6600 58000017
	ds_read_b128 a[92:95], v23 offset:26368                    // 0000000058C8: DBFE6700 5C000017
	ds_read_b128 a[32:35], v22                                 // 0000000058D0: DBFE0000 20000016
	ds_read_b128 a[36:39], v22 offset:512                      // 0000000058D8: DBFE0200 24000016
	ds_read_b128 a[40:43], v22 offset:2176                     // 0000000058E0: DBFE0880 28000016
	ds_read_b128 a[44:47], v22 offset:2688                     // 0000000058E8: DBFE0A80 2C000016
	s_waitcnt vmcnt(32) lgkmcnt(0)                             // 0000000058F0: BF8C8070
	s_barrier                                                  // 0000000058F4: BF8A0000
	s_cmp_lt_i32 0, s73                                        // 0000000058F8: BF044980
	s_cbranch_scc1 label_06D0                                  // 0000000058FC: BF850010
	v_mov_b32_e32 v152, 0                                      // 000000005900: 7F300280
	v_mov_b32_e32 v153, 0                                      // 000000005904: 7F320280
	v_mov_b32_e32 v154, 0                                      // 000000005908: 7F340280
	v_mov_b32_e32 v155, 0                                      // 00000000590C: 7F360280
	v_mov_b32_e32 v156, 0                                      // 000000005910: 7F380280
	v_mov_b32_e32 v157, 0                                      // 000000005914: 7F3A0280
	v_mov_b32_e32 v158, 0                                      // 000000005918: 7F3C0280
	v_mov_b32_e32 v159, 0                                      // 00000000591C: 7F3E0280
	v_mov_b32_e32 v160, 0                                      // 000000005920: 7F400280
	v_mov_b32_e32 v161, 0                                      // 000000005924: 7F420280
	v_mov_b32_e32 v162, 0                                      // 000000005928: 7F440280
	v_mov_b32_e32 v163, 0                                      // 00000000592C: 7F460280
	v_mov_b32_e32 v164, 0                                      // 000000005930: 7F480280
	v_mov_b32_e32 v165, 0                                      // 000000005934: 7F4A0280
	v_mov_b32_e32 v166, 0                                      // 000000005938: 7F4C0280
	v_mov_b32_e32 v167, 0                                      // 00000000593C: 7F4E0280

0000000000005940 <label_06D0>:
	ds_write_b32 v11, v152                                     // 000000005940: D81A0000 0000980B
	ds_write_b32 v11, v153 offset:1056                         // 000000005948: D81A0420 0000990B
	ds_write_b32 v11, v154 offset:128                          // 000000005950: D81A0080 00009A0B
	ds_write_b32 v11, v155 offset:1184                         // 000000005958: D81A04A0 00009B0B
	ds_write_b32 v11, v156 offset:4352                         // 000000005960: D81A1100 00009C0B
	ds_write_b32 v11, v157 offset:5408                         // 000000005968: D81A1520 00009D0B
	ds_write_b32 v11, v158 offset:4480                         // 000000005970: D81A1180 00009E0B
	ds_write_b32 v11, v159 offset:5536                         // 000000005978: D81A15A0 00009F0B
	ds_write_b32 v11, v160 offset:8704                         // 000000005980: D81A2200 0000A00B
	ds_write_b32 v11, v161 offset:9760                         // 000000005988: D81A2620 0000A10B
	ds_write_b32 v11, v162 offset:8832                         // 000000005990: D81A2280 0000A20B
	ds_write_b32 v11, v163 offset:9888                         // 000000005998: D81A26A0 0000A30B
	ds_write_b32 v11, v164 offset:13056                        // 0000000059A0: D81A3300 0000A40B
	ds_write_b32 v11, v165 offset:14112                        // 0000000059A8: D81A3720 0000A50B
	ds_write_b32 v11, v166 offset:13184                        // 0000000059B0: D81A3380 0000A60B
	ds_write_b32 v11, v167 offset:14240                        // 0000000059B8: D81A37A0 0000A70B
	s_mov_b32 s71, s5                                          // 0000000059C0: BEC70005
	v_lshrrev_b32_e32 v28, 4, v0                               // 0000000059C4: 20380084
	v_and_b32_e32 v29, 1, v28                                  // 0000000059C8: 263A3881
	v_lshlrev_b32_e32 v29, 1, v29                              // 0000000059CC: 243A3A81
	v_mul_i32_i24_e32 v29, s71, v29                            // 0000000059D0: 0C3A3A47
	v_and_b32_e32 v30, 2, v28                                  // 0000000059D4: 263C3882
	v_lshlrev_b32_e32 v30, 5, v30                              // 0000000059D8: 243C3C85
	v_add_u32_e32 v29, v30, v29                                // 0000000059DC: 683A3B1E
	v_and_b32_e32 v28, 15, v0                                  // 0000000059E0: 2638008F
	v_lshlrev_b32_e32 v28, 2, v28                              // 0000000059E4: 24383882
	v_add_u32_e32 v1, v28, v29                                 // 0000000059E8: 68023B1C
	s_and_b32 s60, 1, s46                                      // 0000000059EC: 863C2E81
	s_mul_i32 s60, s60, s71                                    // 0000000059F0: 923C473C
	s_mul_i32 s60, s60, 8                                      // 0000000059F4: 923C883C
	s_lshr_b32 s61, s46, 1                                     // 0000000059F8: 8F3D812E
	s_mul_i32 s61, s61, 0x80                                   // 0000000059FC: 923DFF3D 00000080
	s_add_u32 s60, s60, s61                                    // 000000005A04: 803C3D3C
	v_add_u32_e32 v1, s60, v1                                  // 000000005A08: 6802023C
	v_add_u32_e32 v2, s71, v1                                  // 000000005A0C: 68040247
	s_mul_i32 s60, 4, s71                                      // 000000005A10: 923C4784
	v_add_u32_e32 v3, s60, v1                                  // 000000005A14: 6806023C
	v_add_u32_e32 v4, s60, v2                                  // 000000005A18: 6808043C
	s_mov_b32 s71, s51                                         // 000000005A1C: BEC70033
	v_lshrrev_b32_e32 v28, 4, v0                               // 000000005A20: 20380084
	v_and_b32_e32 v29, 1, v28                                  // 000000005A24: 263A3881
	v_lshlrev_b32_e32 v29, 1, v29                              // 000000005A28: 243A3A81
	v_mul_i32_i24_e32 v29, s71, v29                            // 000000005A2C: 0C3A3A47
	v_and_b32_e32 v30, 2, v28                                  // 000000005A30: 263C3882
	v_lshlrev_b32_e32 v30, 5, v30                              // 000000005A34: 243C3C85
	v_add_u32_e32 v29, v30, v29                                // 000000005A38: 683A3B1E
	v_and_b32_e32 v28, 15, v0                                  // 000000005A3C: 2638008F
	v_lshlrev_b32_e32 v28, 2, v28                              // 000000005A40: 24383882
	v_add_u32_e32 v248, v28, v29                               // 000000005A44: 69F03B1C
	s_and_b32 s60, 1, s46                                      // 000000005A48: 863C2E81
	s_mul_i32 s60, s60, s71                                    // 000000005A4C: 923C473C
	s_mul_i32 s60, s60, 8                                      // 000000005A50: 923C883C
	s_lshr_b32 s61, s46, 1                                     // 000000005A54: 8F3D812E
	s_mul_i32 s61, s61, 0x80                                   // 000000005A58: 923DFF3D 00000080
	s_add_u32 s60, s60, s61                                    // 000000005A60: 803C3D3C
	v_add_u32_e32 v248, s60, v248                              // 000000005A64: 69F1F03C
	v_add_u32_e32 v249, s71, v248                              // 000000005A68: 69F3F047
	s_mul_i32 s60, 4, s71                                      // 000000005A6C: 923C4784
	v_add_u32_e32 v250, s60, v248                              // 000000005A70: 69F5F03C
	v_add_u32_e32 v251, s60, v249                              // 000000005A74: 69F7F23C
	v_lshrrev_b32_e32 v1, 2, v1                                // 000000005A78: 20020282
	v_lshrrev_b32_e32 v2, 2, v2                                // 000000005A7C: 20040482
	v_lshrrev_b32_e32 v3, 2, v3                                // 000000005A80: 20060682
	v_lshrrev_b32_e32 v4, 2, v4                                // 000000005A84: 20080882
	v_lshrrev_b32_e32 v248, 2, v248                            // 000000005A88: 21F1F082
	v_lshrrev_b32_e32 v249, 2, v249                            // 000000005A8C: 21F3F282
	v_lshrrev_b32_e32 v250, 2, v250                            // 000000005A90: 21F5F482
	v_lshrrev_b32_e32 v251, 2, v251                            // 000000005A94: 21F7F682
	v_mov_b32_e32 v32, 0                                       // 000000005A98: 7E400280
	s_mov_b64 exec, s[86:87]                                   // 000000005A9C: BEFE0156
	buffer_load_dword v32, v1, s[8:11], 0 idxen                // 000000005AA0: E0502000 80022001
	s_mov_b64 exec, s[84:85]                                   // 000000005AA8: BEFE0154
	v_mov_b32_e32 v33, 0                                       // 000000005AAC: 7E420280
	s_mov_b64 exec, s[86:87]                                   // 000000005AB0: BEFE0156
	buffer_load_dword v33, v2, s[8:11], 0 idxen                // 000000005AB4: E0502000 80022102
	s_mov_b64 exec, s[84:85]                                   // 000000005ABC: BEFE0154
	v_mov_b32_e32 v34, 0                                       // 000000005AC0: 7E440280
	s_mov_b64 exec, s[86:87]                                   // 000000005AC4: BEFE0156
	buffer_load_dword v34, v3, s[8:11], 0 idxen                // 000000005AC8: E0502000 80022203
	s_mov_b64 exec, s[84:85]                                   // 000000005AD0: BEFE0154
	v_mov_b32_e32 v35, 0                                       // 000000005AD4: 7E460280
	s_mov_b64 exec, s[86:87]                                   // 000000005AD8: BEFE0156
	buffer_load_dword v35, v4, s[8:11], 0 idxen                // 000000005ADC: E0502000 80022304
	s_mov_b64 exec, s[84:85]                                   // 000000005AE4: BEFE0154
	v_mov_b32_e32 v40, 0                                       // 000000005AE8: 7E500280
	s_mov_b64 exec, s[86:87]                                   // 000000005AEC: BEFE0156
	buffer_load_dword v40, v248, s[20:23], 0 idxen             // 000000005AF0: E0502000 800528F8
	s_mov_b64 exec, s[84:85]                                   // 000000005AF8: BEFE0154
	v_mov_b32_e32 v41, 0                                       // 000000005AFC: 7E520280
	s_mov_b64 exec, s[86:87]                                   // 000000005B00: BEFE0156
	buffer_load_dword v41, v249, s[20:23], 0 idxen             // 000000005B04: E0502000 800529F9
	s_mov_b64 exec, s[84:85]                                   // 000000005B0C: BEFE0154
	v_mov_b32_e32 v42, 0                                       // 000000005B10: 7E540280
	s_mov_b64 exec, s[86:87]                                   // 000000005B14: BEFE0156
	buffer_load_dword v42, v250, s[20:23], 0 idxen             // 000000005B18: E0502000 80052AFA
	s_mov_b64 exec, s[84:85]                                   // 000000005B20: BEFE0154
	v_mov_b32_e32 v43, 0                                       // 000000005B24: 7E560280
	s_mov_b64 exec, s[86:87]                                   // 000000005B28: BEFE0156
	buffer_load_dword v43, v251, s[20:23], 0 idxen             // 000000005B2C: E0502000 80052BFB
	s_mov_b64 exec, s[84:85]                                   // 000000005B34: BEFE0154
	s_waitcnt lgkmcnt(0)                                       // 000000005B38: BF8CC07F
	s_barrier                                                  // 000000005B3C: BF8A0000
	ds_read_b128 a[96:99], v22                                 // 000000005B40: DBFE0000 60000016
	ds_read_b128 a[100:103], v22 offset:512                    // 000000005B48: DBFE0200 64000016
	ds_read_b128 a[104:107], v22 offset:2176                   // 000000005B50: DBFE0880 68000016
	ds_read_b128 a[108:111], v22 offset:2688                   // 000000005B58: DBFE0A80 6C000016
	v_add_u32_e32 v1, s68, v1                                  // 000000005B60: 68020244
	v_add_u32_e32 v2, s68, v2                                  // 000000005B64: 68040444
	v_add_u32_e32 v3, s68, v3                                  // 000000005B68: 68060644
	v_add_u32_e32 v4, s68, v4                                  // 000000005B6C: 68080844
	v_add_u32_e32 v248, s95, v248                              // 000000005B70: 69F1F05F
	v_add_u32_e32 v249, s95, v249                              // 000000005B74: 69F3F25F
	v_add_u32_e32 v250, s95, v250                              // 000000005B78: 69F5F45F
	v_add_u32_e32 v251, s95, v251                              // 000000005B7C: 69F7F65F
	s_waitcnt vmcnt(24) lgkmcnt(0)                             // 000000005B80: BF8C4078
	s_barrier                                                  // 000000005B84: BF8A0000
	s_cmp_lt_i32 1, s73                                        // 000000005B88: BF044981
	s_cbranch_scc1 label_0774                                  // 000000005B8C: BF850010
	v_mov_b32_e32 v168, 0                                      // 000000005B90: 7F500280
	v_mov_b32_e32 v169, 0                                      // 000000005B94: 7F520280
	v_mov_b32_e32 v170, 0                                      // 000000005B98: 7F540280
	v_mov_b32_e32 v171, 0                                      // 000000005B9C: 7F560280
	v_mov_b32_e32 v172, 0                                      // 000000005BA0: 7F580280
	v_mov_b32_e32 v173, 0                                      // 000000005BA4: 7F5A0280
	v_mov_b32_e32 v174, 0                                      // 000000005BA8: 7F5C0280
	v_mov_b32_e32 v175, 0                                      // 000000005BAC: 7F5E0280
	v_mov_b32_e32 v176, 0                                      // 000000005BB0: 7F600280
	v_mov_b32_e32 v177, 0                                      // 000000005BB4: 7F620280
	v_mov_b32_e32 v178, 0                                      // 000000005BB8: 7F640280
	v_mov_b32_e32 v179, 0                                      // 000000005BBC: 7F660280
	v_mov_b32_e32 v180, 0                                      // 000000005BC0: 7F680280
	v_mov_b32_e32 v181, 0                                      // 000000005BC4: 7F6A0280
	v_mov_b32_e32 v182, 0                                      // 000000005BC8: 7F6C0280
	v_mov_b32_e32 v183, 0                                      // 000000005BCC: 7F6E0280

0000000000005bd0 <label_0774>:
	ds_write_b32 v11, v168                                     // 000000005BD0: D81A0000 0000A80B
	ds_write_b32 v11, v169 offset:1056                         // 000000005BD8: D81A0420 0000A90B
	ds_write_b32 v11, v170 offset:128                          // 000000005BE0: D81A0080 0000AA0B
	ds_write_b32 v11, v171 offset:1184                         // 000000005BE8: D81A04A0 0000AB0B
	ds_write_b32 v11, v172 offset:4352                         // 000000005BF0: D81A1100 0000AC0B
	ds_write_b32 v11, v173 offset:5408                         // 000000005BF8: D81A1520 0000AD0B
	ds_write_b32 v11, v174 offset:4480                         // 000000005C00: D81A1180 0000AE0B
	ds_write_b32 v11, v175 offset:5536                         // 000000005C08: D81A15A0 0000AF0B
	ds_write_b32 v11, v176 offset:8704                         // 000000005C10: D81A2200 0000B00B
	ds_write_b32 v11, v177 offset:9760                         // 000000005C18: D81A2620 0000B10B
	ds_write_b32 v11, v178 offset:8832                         // 000000005C20: D81A2280 0000B20B
	ds_write_b32 v11, v179 offset:9888                         // 000000005C28: D81A26A0 0000B30B
	ds_write_b32 v11, v180 offset:13056                        // 000000005C30: D81A3300 0000B40B
	ds_write_b32 v11, v181 offset:14112                        // 000000005C38: D81A3720 0000B50B
	ds_write_b32 v11, v182 offset:13184                        // 000000005C40: D81A3380 0000B60B
	ds_write_b32 v11, v183 offset:14240                        // 000000005C48: D81A37A0 0000B70B
	v_mov_b32_e32 v36, 0                                       // 000000005C50: 7E480280
	s_mov_b64 exec, s[86:87]                                   // 000000005C54: BEFE0156
	buffer_load_dword v36, v1, s[8:11], 0 idxen                // 000000005C58: E0502000 80022401
	s_mov_b64 exec, s[84:85]                                   // 000000005C60: BEFE0154
	v_mov_b32_e32 v37, 0                                       // 000000005C64: 7E4A0280
	s_mov_b64 exec, s[86:87]                                   // 000000005C68: BEFE0156
	buffer_load_dword v37, v2, s[8:11], 0 idxen                // 000000005C6C: E0502000 80022502
	s_mov_b64 exec, s[84:85]                                   // 000000005C74: BEFE0154
	v_mov_b32_e32 v38, 0                                       // 000000005C78: 7E4C0280
	s_mov_b64 exec, s[86:87]                                   // 000000005C7C: BEFE0156
	buffer_load_dword v38, v3, s[8:11], 0 idxen                // 000000005C80: E0502000 80022603
	s_mov_b64 exec, s[84:85]                                   // 000000005C88: BEFE0154
	v_mov_b32_e32 v39, 0                                       // 000000005C8C: 7E4E0280
	s_mov_b64 exec, s[86:87]                                   // 000000005C90: BEFE0156
	buffer_load_dword v39, v4, s[8:11], 0 idxen                // 000000005C94: E0502000 80022704
	s_mov_b64 exec, s[84:85]                                   // 000000005C9C: BEFE0154
	v_mov_b32_e32 v44, 0                                       // 000000005CA0: 7E580280
	s_mov_b64 exec, s[86:87]                                   // 000000005CA4: BEFE0156
	buffer_load_dword v44, v248, s[20:23], 0 idxen             // 000000005CA8: E0502000 80052CF8
	s_mov_b64 exec, s[84:85]                                   // 000000005CB0: BEFE0154
	v_mov_b32_e32 v45, 0                                       // 000000005CB4: 7E5A0280
	s_mov_b64 exec, s[86:87]                                   // 000000005CB8: BEFE0156
	buffer_load_dword v45, v249, s[20:23], 0 idxen             // 000000005CBC: E0502000 80052DF9
	s_mov_b64 exec, s[84:85]                                   // 000000005CC4: BEFE0154
	v_mov_b32_e32 v46, 0                                       // 000000005CC8: 7E5C0280
	s_mov_b64 exec, s[86:87]                                   // 000000005CCC: BEFE0156
	buffer_load_dword v46, v250, s[20:23], 0 idxen             // 000000005CD0: E0502000 80052EFA
	s_mov_b64 exec, s[84:85]                                   // 000000005CD8: BEFE0154
	v_mov_b32_e32 v47, 0                                       // 000000005CDC: 7E5E0280
	s_mov_b64 exec, s[86:87]                                   // 000000005CE0: BEFE0156
	buffer_load_dword v47, v251, s[20:23], 0 idxen             // 000000005CE4: E0502000 80052FFB
	s_mov_b64 exec, s[84:85]                                   // 000000005CEC: BEFE0154
	s_waitcnt lgkmcnt(0)                                       // 000000005CF0: BF8CC07F
	s_barrier                                                  // 000000005CF4: BF8A0000
	ds_read_b128 a[112:115], v22                               // 000000005CF8: DBFE0000 70000016
	ds_read_b128 a[116:119], v22 offset:512                    // 000000005D00: DBFE0200 74000016
	ds_read_b128 a[120:123], v22 offset:2176                   // 000000005D08: DBFE0880 78000016
	ds_read_b128 a[124:127], v22 offset:2688                   // 000000005D10: DBFE0A80 7C000016
	v_add_u32_e32 v1, s68, v1                                  // 000000005D18: 68020244
	v_add_u32_e32 v2, s68, v2                                  // 000000005D1C: 68040444
	v_add_u32_e32 v3, s68, v3                                  // 000000005D20: 68060644
	v_add_u32_e32 v4, s68, v4                                  // 000000005D24: 68080844
	v_add_u32_e32 v248, s95, v248                              // 000000005D28: 69F1F05F
	v_add_u32_e32 v249, s95, v249                              // 000000005D2C: 69F3F25F
	v_add_u32_e32 v250, s95, v250                              // 000000005D30: 69F5F45F
	v_add_u32_e32 v251, s95, v251                              // 000000005D34: 69F7F65F
	s_waitcnt vmcnt(16) lgkmcnt(0)                             // 000000005D38: BF8C4070
	s_barrier                                                  // 000000005D3C: BF8A0000
	s_cmp_lt_i32 2, s73                                        // 000000005D40: BF044982
	s_cbranch_scc1 label_07E2                                  // 000000005D44: BF850010
	v_mov_b32_e32 v184, 0                                      // 000000005D48: 7F700280
	v_mov_b32_e32 v185, 0                                      // 000000005D4C: 7F720280
	v_mov_b32_e32 v186, 0                                      // 000000005D50: 7F740280
	v_mov_b32_e32 v187, 0                                      // 000000005D54: 7F760280
	v_mov_b32_e32 v188, 0                                      // 000000005D58: 7F780280
	v_mov_b32_e32 v189, 0                                      // 000000005D5C: 7F7A0280
	v_mov_b32_e32 v190, 0                                      // 000000005D60: 7F7C0280
	v_mov_b32_e32 v191, 0                                      // 000000005D64: 7F7E0280
	v_mov_b32_e32 v192, 0                                      // 000000005D68: 7F800280
	v_mov_b32_e32 v193, 0                                      // 000000005D6C: 7F820280
	v_mov_b32_e32 v194, 0                                      // 000000005D70: 7F840280
	v_mov_b32_e32 v195, 0                                      // 000000005D74: 7F860280
	v_mov_b32_e32 v196, 0                                      // 000000005D78: 7F880280
	v_mov_b32_e32 v197, 0                                      // 000000005D7C: 7F8A0280
	v_mov_b32_e32 v198, 0                                      // 000000005D80: 7F8C0280
	v_mov_b32_e32 v199, 0                                      // 000000005D84: 7F8E0280

0000000000005d88 <label_07E2>:
	ds_write_b32 v11, v184                                     // 000000005D88: D81A0000 0000B80B
	ds_write_b32 v11, v185 offset:1056                         // 000000005D90: D81A0420 0000B90B
	ds_write_b32 v11, v186 offset:128                          // 000000005D98: D81A0080 0000BA0B
	ds_write_b32 v11, v187 offset:1184                         // 000000005DA0: D81A04A0 0000BB0B
	ds_write_b32 v11, v188 offset:4352                         // 000000005DA8: D81A1100 0000BC0B
	ds_write_b32 v11, v189 offset:5408                         // 000000005DB0: D81A1520 0000BD0B
	ds_write_b32 v11, v190 offset:4480                         // 000000005DB8: D81A1180 0000BE0B
	ds_write_b32 v11, v191 offset:5536                         // 000000005DC0: D81A15A0 0000BF0B
	ds_write_b32 v11, v192 offset:8704                         // 000000005DC8: D81A2200 0000C00B
	ds_write_b32 v11, v193 offset:9760                         // 000000005DD0: D81A2620 0000C10B
	ds_write_b32 v11, v194 offset:8832                         // 000000005DD8: D81A2280 0000C20B
	ds_write_b32 v11, v195 offset:9888                         // 000000005DE0: D81A26A0 0000C30B
	ds_write_b32 v11, v196 offset:13056                        // 000000005DE8: D81A3300 0000C40B
	ds_write_b32 v11, v197 offset:14112                        // 000000005DF0: D81A3720 0000C50B
	ds_write_b32 v11, v198 offset:13184                        // 000000005DF8: D81A3380 0000C60B
	ds_write_b32 v11, v199 offset:14240                        // 000000005E00: D81A37A0 0000C70B
	s_waitcnt lgkmcnt(0)                                       // 000000005E08: BF8CC07F
	s_barrier                                                  // 000000005E0C: BF8A0000
	ds_read_b128 a[128:131], v22                               // 000000005E10: DBFE0000 80000016
	ds_read_b128 a[132:135], v22 offset:512                    // 000000005E18: DBFE0200 84000016
	ds_read_b128 a[136:139], v22 offset:2176                   // 000000005E20: DBFE0880 88000016
	ds_read_b128 a[140:143], v22 offset:2688                   // 000000005E28: DBFE0A80 8C000016
	s_waitcnt vmcnt(8) lgkmcnt(0)                              // 000000005E30: BF8C0078
	s_barrier                                                  // 000000005E34: BF8A0000
	buffer_load_dword v9, s[24:27], 0 idxen lds                // 000000005E38: E0512000 80060009
	s_mov_b32 m0, s75                                          // 000000005E40: BEFC004B
	v_add_u32_e32 v9, s69, v9                                  // 000000005E44: 68121245
	v_perm_b32 v84, v33, v32, s63                              // 000000005E48: D1ED0054 00FE4121
	v_perm_b32 v85, v33, v32, s64                              // 000000005E50: D1ED0055 01024121
	v_perm_b32 v86, v35, v34, s63                              // 000000005E58: D1ED0056 00FE4523
	v_perm_b32 v87, v35, v34, s64                              // 000000005E60: D1ED0057 01024523
	ds_write_b32 v13, v84 offset:4352                          // 000000005E68: D81A1100 0000540D
	ds_write_b32 v13, v85 offset:5408                          // 000000005E70: D81A1520 0000550D
	ds_write_b32 v13, v86 offset:4480                          // 000000005E78: D81A1180 0000560D
	ds_write_b32 v13, v87 offset:5536                          // 000000005E80: D81A15A0 0000570D
	ds_write_b32 v11, v32                                      // 000000005E88: D81A0000 0000200B
	ds_write_b32 v11, v33 offset:1056                          // 000000005E90: D81A0420 0000210B
	ds_write_b32 v11, v34 offset:128                           // 000000005E98: D81A0080 0000220B
	ds_write_b32 v11, v35 offset:1184                          // 000000005EA0: D81A04A0 0000230B
	buffer_load_dword v9, s[24:27], 0 idxen lds                // 000000005EA8: E0512000 80060009
	s_mov_b32 m0, s74                                          // 000000005EB0: BEFC004A
	v_add_u32_e32 v9, s69, v9                                  // 000000005EB4: 68121245
	v_perm_b32 v88, v41, v40, s63                              // 000000005EB8: D1ED0058 00FE5129
	v_perm_b32 v89, v41, v40, s64                              // 000000005EC0: D1ED0059 01025129
	v_perm_b32 v90, v43, v42, s63                              // 000000005EC8: D1ED005A 00FE552B
	v_perm_b32 v91, v43, v42, s64                              // 000000005ED0: D1ED005B 0102552B
	ds_write_b32 v13, v88 offset:13056                         // 000000005ED8: D81A3300 0000580D
	ds_write_b32 v13, v89 offset:14112                         // 000000005EE0: D81A3720 0000590D
	ds_write_b32 v13, v90 offset:13184                         // 000000005EE8: D81A3380 00005A0D
	ds_write_b32 v13, v91 offset:14240                         // 000000005EF0: D81A37A0 00005B0D
	ds_write_b32 v11, v40 offset:8704                          // 000000005EF8: D81A2200 0000280B
	ds_write_b32 v11, v41 offset:9760                          // 000000005F00: D81A2620 0000290B
	ds_write_b32 v11, v42 offset:8832                          // 000000005F08: D81A2280 00002A0B
	ds_write_b32 v11, v43 offset:9888                          // 000000005F10: D81A26A0 00002B0B
	s_waitcnt vmcnt(1) lgkmcnt(0)                              // 000000005F18: BF8C0071
	s_barrier                                                  // 000000005F1C: BF8A0000
	ds_read_b128 a[144:147], v10                               // 000000005F20: DBFE0000 9000000A
	ds_read_b128 a[148:151], v10 offset:512                    // 000000005F28: DBFE0200 9400000A
	ds_read_b128 a[152:155], v10 offset:2176                   // 000000005F30: DBFE0880 9800000A
	ds_read_b128 a[156:159], v10 offset:2688                   // 000000005F38: DBFE0A80 9C00000A
	ds_read_b128 v[92:95], v10 offset:8704                     // 000000005F40: D9FE2200 5C00000A
	ds_read_b128 v[96:99], v10 offset:9216                     // 000000005F48: D9FE2400 6000000A
	ds_read_b128 v[100:103], v10 offset:10880                  // 000000005F50: D9FE2A80 6400000A
	ds_read_b128 v[104:107], v10 offset:11392                  // 000000005F58: D9FE2C80 6800000A
	ds_read_b32 v124, v21 offset:50688                         // 000000005F60: D86CC600 7C000015
	ds_read_b32 v150, v21 offset:50944                         // 000000005F68: D86CC700 96000015
	v_accvgpr_write_b32 a160, 0                                // 000000005F70: D3D940A0 18000080
	v_mov_b32_e32 v152, 0                                      // 000000005F78: 7F300280
	v_accvgpr_write_b32 a161, 0                                // 000000005F7C: D3D940A1 18000080
	v_mov_b32_e32 v153, 0                                      // 000000005F84: 7F320280
	v_accvgpr_write_b32 a162, 0                                // 000000005F88: D3D940A2 18000080
	v_mov_b32_e32 v154, 0                                      // 000000005F90: 7F340280
	v_accvgpr_write_b32 a163, 0                                // 000000005F94: D3D940A3 18000080
	v_mov_b32_e32 v155, 0                                      // 000000005F9C: 7F360280
	v_accvgpr_write_b32 a164, 0                                // 000000005FA0: D3D940A4 18000080
	v_mov_b32_e32 v156, 0                                      // 000000005FA8: 7F380280
	v_accvgpr_write_b32 a165, 0                                // 000000005FAC: D3D940A5 18000080
	v_mov_b32_e32 v157, 0                                      // 000000005FB4: 7F3A0280
	v_accvgpr_write_b32 a166, 0                                // 000000005FB8: D3D940A6 18000080
	v_mov_b32_e32 v158, 0                                      // 000000005FC0: 7F3C0280
	v_accvgpr_write_b32 a167, 0                                // 000000005FC4: D3D940A7 18000080
	v_mov_b32_e32 v159, 0                                      // 000000005FCC: 7F3E0280
	v_accvgpr_write_b32 a168, 0                                // 000000005FD0: D3D940A8 18000080
	v_mov_b32_e32 v160, 0                                      // 000000005FD8: 7F400280
	v_accvgpr_write_b32 a169, 0                                // 000000005FDC: D3D940A9 18000080
	v_mov_b32_e32 v161, 0                                      // 000000005FE4: 7F420280
	v_accvgpr_write_b32 a170, 0                                // 000000005FE8: D3D940AA 18000080
	v_mov_b32_e32 v162, 0                                      // 000000005FF0: 7F440280
	v_accvgpr_write_b32 a171, 0                                // 000000005FF4: D3D940AB 18000080
	v_mov_b32_e32 v163, 0                                      // 000000005FFC: 7F460280
	v_accvgpr_write_b32 a172, 0                                // 000000006000: D3D940AC 18000080
	v_mov_b32_e32 v164, 0                                      // 000000006008: 7F480280
	v_accvgpr_write_b32 a173, 0                                // 00000000600C: D3D940AD 18000080
	v_mov_b32_e32 v165, 0                                      // 000000006014: 7F4A0280
	v_accvgpr_write_b32 a174, 0                                // 000000006018: D3D940AE 18000080
	v_mov_b32_e32 v166, 0                                      // 000000006020: 7F4C0280
	v_accvgpr_write_b32 a175, 0                                // 000000006024: D3D940AF 18000080
	v_mov_b32_e32 v167, 0                                      // 00000000602C: 7F4E0280
	v_accvgpr_write_b32 a176, 0                                // 000000006030: D3D940B0 18000080
	v_mov_b32_e32 v168, 0                                      // 000000006038: 7F500280
	v_accvgpr_write_b32 a177, 0                                // 00000000603C: D3D940B1 18000080
	v_mov_b32_e32 v169, 0                                      // 000000006044: 7F520280
	v_accvgpr_write_b32 a178, 0                                // 000000006048: D3D940B2 18000080
	v_mov_b32_e32 v170, 0                                      // 000000006050: 7F540280
	v_accvgpr_write_b32 a179, 0                                // 000000006054: D3D940B3 18000080
	v_mov_b32_e32 v171, 0                                      // 00000000605C: 7F560280
	v_accvgpr_write_b32 a180, 0                                // 000000006060: D3D940B4 18000080
	v_mov_b32_e32 v172, 0                                      // 000000006068: 7F580280
	v_accvgpr_write_b32 a181, 0                                // 00000000606C: D3D940B5 18000080
	v_mov_b32_e32 v173, 0                                      // 000000006074: 7F5A0280
	v_accvgpr_write_b32 a182, 0                                // 000000006078: D3D940B6 18000080
	v_mov_b32_e32 v174, 0                                      // 000000006080: 7F5C0280
	v_accvgpr_write_b32 a183, 0                                // 000000006084: D3D940B7 18000080
	v_mov_b32_e32 v175, 0                                      // 00000000608C: 7F5E0280
	v_accvgpr_write_b32 a184, 0                                // 000000006090: D3D940B8 18000080
	v_mov_b32_e32 v176, 0                                      // 000000006098: 7F600280
	v_accvgpr_write_b32 a185, 0                                // 00000000609C: D3D940B9 18000080
	v_mov_b32_e32 v177, 0                                      // 0000000060A4: 7F620280
	v_accvgpr_write_b32 a186, 0                                // 0000000060A8: D3D940BA 18000080
	v_mov_b32_e32 v178, 0                                      // 0000000060B0: 7F640280
	v_accvgpr_write_b32 a187, 0                                // 0000000060B4: D3D940BB 18000080
	v_mov_b32_e32 v179, 0                                      // 0000000060BC: 7F660280
	v_accvgpr_write_b32 a188, 0                                // 0000000060C0: D3D940BC 18000080
	v_mov_b32_e32 v180, 0                                      // 0000000060C8: 7F680280
	v_accvgpr_write_b32 a189, 0                                // 0000000060CC: D3D940BD 18000080
	v_mov_b32_e32 v181, 0                                      // 0000000060D4: 7F6A0280
	v_accvgpr_write_b32 a190, 0                                // 0000000060D8: D3D940BE 18000080
	v_mov_b32_e32 v182, 0                                      // 0000000060E0: 7F6C0280
	v_accvgpr_write_b32 a191, 0                                // 0000000060E4: D3D940BF 18000080
	v_mov_b32_e32 v183, 0                                      // 0000000060EC: 7F6E0280
	v_accvgpr_write_b32 a192, 0                                // 0000000060F0: D3D940C0 18000080
	v_mov_b32_e32 v184, 0                                      // 0000000060F8: 7F700280
	v_accvgpr_write_b32 a193, 0                                // 0000000060FC: D3D940C1 18000080
	v_mov_b32_e32 v185, 0                                      // 000000006104: 7F720280
	v_accvgpr_write_b32 a194, 0                                // 000000006108: D3D940C2 18000080
	v_mov_b32_e32 v186, 0                                      // 000000006110: 7F740280
	v_accvgpr_write_b32 a195, 0                                // 000000006114: D3D940C3 18000080
	v_mov_b32_e32 v187, 0                                      // 00000000611C: 7F760280
	v_accvgpr_write_b32 a196, 0                                // 000000006120: D3D940C4 18000080
	v_mov_b32_e32 v188, 0                                      // 000000006128: 7F780280
	v_accvgpr_write_b32 a197, 0                                // 00000000612C: D3D940C5 18000080
	v_mov_b32_e32 v189, 0                                      // 000000006134: 7F7A0280
	v_accvgpr_write_b32 a198, 0                                // 000000006138: D3D940C6 18000080
	v_mov_b32_e32 v190, 0                                      // 000000006140: 7F7C0280
	v_accvgpr_write_b32 a199, 0                                // 000000006144: D3D940C7 18000080
	v_mov_b32_e32 v191, 0                                      // 00000000614C: 7F7E0280
	v_accvgpr_write_b32 a200, 0                                // 000000006150: D3D940C8 18000080
	v_mov_b32_e32 v192, 0                                      // 000000006158: 7F800280
	v_accvgpr_write_b32 a201, 0                                // 00000000615C: D3D940C9 18000080
	v_mov_b32_e32 v193, 0                                      // 000000006164: 7F820280
	v_accvgpr_write_b32 a202, 0                                // 000000006168: D3D940CA 18000080
	v_mov_b32_e32 v194, 0                                      // 000000006170: 7F840280
	v_accvgpr_write_b32 a203, 0                                // 000000006174: D3D940CB 18000080
	v_mov_b32_e32 v195, 0                                      // 00000000617C: 7F860280
	v_accvgpr_write_b32 a204, 0                                // 000000006180: D3D940CC 18000080
	v_mov_b32_e32 v196, 0                                      // 000000006188: 7F880280
	v_accvgpr_write_b32 a205, 0                                // 00000000618C: D3D940CD 18000080
	v_mov_b32_e32 v197, 0                                      // 000000006194: 7F8A0280
	v_accvgpr_write_b32 a206, 0                                // 000000006198: D3D940CE 18000080
	v_mov_b32_e32 v198, 0                                      // 0000000061A0: 7F8C0280
	v_accvgpr_write_b32 a207, 0                                // 0000000061A4: D3D940CF 18000080
	v_mov_b32_e32 v199, 0                                      // 0000000061AC: 7F8E0280
	v_accvgpr_write_b32 a208, 0                                // 0000000061B0: D3D940D0 18000080
	v_mov_b32_e32 v200, 0                                      // 0000000061B8: 7F900280
	v_accvgpr_write_b32 a209, 0                                // 0000000061BC: D3D940D1 18000080
	v_mov_b32_e32 v201, 0                                      // 0000000061C4: 7F920280
	v_accvgpr_write_b32 a210, 0                                // 0000000061C8: D3D940D2 18000080
	v_mov_b32_e32 v202, 0                                      // 0000000061D0: 7F940280
	v_accvgpr_write_b32 a211, 0                                // 0000000061D4: D3D940D3 18000080
	v_mov_b32_e32 v203, 0                                      // 0000000061DC: 7F960280
	v_accvgpr_write_b32 a212, 0                                // 0000000061E0: D3D940D4 18000080
	v_mov_b32_e32 v204, 0                                      // 0000000061E8: 7F980280
	v_accvgpr_write_b32 a213, 0                                // 0000000061EC: D3D940D5 18000080
	v_mov_b32_e32 v205, 0                                      // 0000000061F4: 7F9A0280
	v_accvgpr_write_b32 a214, 0                                // 0000000061F8: D3D940D6 18000080
	v_mov_b32_e32 v206, 0                                      // 000000006200: 7F9C0280
	v_accvgpr_write_b32 a215, 0                                // 000000006204: D3D940D7 18000080
	v_mov_b32_e32 v207, 0                                      // 00000000620C: 7F9E0280
	v_accvgpr_write_b32 a216, 0                                // 000000006210: D3D940D8 18000080
	v_mov_b32_e32 v208, 0                                      // 000000006218: 7FA00280
	v_accvgpr_write_b32 a217, 0                                // 00000000621C: D3D940D9 18000080
	v_mov_b32_e32 v209, 0                                      // 000000006224: 7FA20280
	v_accvgpr_write_b32 a218, 0                                // 000000006228: D3D940DA 18000080
	v_mov_b32_e32 v210, 0                                      // 000000006230: 7FA40280
	v_accvgpr_write_b32 a219, 0                                // 000000006234: D3D940DB 18000080
	v_mov_b32_e32 v211, 0                                      // 00000000623C: 7FA60280
	v_accvgpr_write_b32 a220, 0                                // 000000006240: D3D940DC 18000080
	v_mov_b32_e32 v212, 0                                      // 000000006248: 7FA80280
	v_accvgpr_write_b32 a221, 0                                // 00000000624C: D3D940DD 18000080
	v_mov_b32_e32 v213, 0                                      // 000000006254: 7FAA0280
	v_accvgpr_write_b32 a222, 0                                // 000000006258: D3D940DE 18000080
	v_mov_b32_e32 v214, 0                                      // 000000006260: 7FAC0280
	v_accvgpr_write_b32 a223, 0                                // 000000006264: D3D940DF 18000080
	v_mov_b32_e32 v215, 0                                      // 00000000626C: 7FAE0280
	v_accvgpr_write_b32 a224, 0                                // 000000006270: D3D940E0 18000080
	v_mov_b32_e32 v216, 0                                      // 000000006278: 7FB00280
	v_accvgpr_write_b32 a225, 0                                // 00000000627C: D3D940E1 18000080
	v_mov_b32_e32 v217, 0                                      // 000000006284: 7FB20280
	v_accvgpr_write_b32 a226, 0                                // 000000006288: D3D940E2 18000080
	v_mov_b32_e32 v218, 0                                      // 000000006290: 7FB40280
	v_accvgpr_write_b32 a227, 0                                // 000000006294: D3D940E3 18000080
	v_mov_b32_e32 v219, 0                                      // 00000000629C: 7FB60280
	v_accvgpr_write_b32 a228, 0                                // 0000000062A0: D3D940E4 18000080
	v_mov_b32_e32 v220, 0                                      // 0000000062A8: 7FB80280
	v_accvgpr_write_b32 a229, 0                                // 0000000062AC: D3D940E5 18000080
	v_mov_b32_e32 v221, 0                                      // 0000000062B4: 7FBA0280
	v_accvgpr_write_b32 a230, 0                                // 0000000062B8: D3D940E6 18000080
	v_mov_b32_e32 v222, 0                                      // 0000000062C0: 7FBC0280
	v_accvgpr_write_b32 a231, 0                                // 0000000062C4: D3D940E7 18000080
	v_mov_b32_e32 v223, 0                                      // 0000000062CC: 7FBE0280
	v_accvgpr_write_b32 a232, 0                                // 0000000062D0: D3D940E8 18000080
	v_mov_b32_e32 v224, 0                                      // 0000000062D8: 7FC00280
	v_accvgpr_write_b32 a233, 0                                // 0000000062DC: D3D940E9 18000080
	v_mov_b32_e32 v225, 0                                      // 0000000062E4: 7FC20280
	v_accvgpr_write_b32 a234, 0                                // 0000000062E8: D3D940EA 18000080
	v_mov_b32_e32 v226, 0                                      // 0000000062F0: 7FC40280
	v_accvgpr_write_b32 a235, 0                                // 0000000062F4: D3D940EB 18000080
	v_mov_b32_e32 v227, 0                                      // 0000000062FC: 7FC60280
	v_accvgpr_write_b32 a236, 0                                // 000000006300: D3D940EC 18000080
	v_mov_b32_e32 v228, 0                                      // 000000006308: 7FC80280
	v_accvgpr_write_b32 a237, 0                                // 00000000630C: D3D940ED 18000080
	v_mov_b32_e32 v229, 0                                      // 000000006314: 7FCA0280
	v_accvgpr_write_b32 a238, 0                                // 000000006318: D3D940EE 18000080
	v_mov_b32_e32 v230, 0                                      // 000000006320: 7FCC0280
	v_accvgpr_write_b32 a239, 0                                // 000000006324: D3D940EF 18000080
	v_mov_b32_e32 v231, 0                                      // 00000000632C: 7FCE0280
	v_accvgpr_write_b32 a240, 0                                // 000000006330: D3D940F0 18000080
	v_mov_b32_e32 v232, 0                                      // 000000006338: 7FD00280
	v_accvgpr_write_b32 a241, 0                                // 00000000633C: D3D940F1 18000080
	v_mov_b32_e32 v233, 0                                      // 000000006344: 7FD20280
	v_accvgpr_write_b32 a242, 0                                // 000000006348: D3D940F2 18000080
	v_mov_b32_e32 v234, 0                                      // 000000006350: 7FD40280
	v_accvgpr_write_b32 a243, 0                                // 000000006354: D3D940F3 18000080
	v_mov_b32_e32 v235, 0                                      // 00000000635C: 7FD60280
	v_accvgpr_write_b32 a244, 0                                // 000000006360: D3D940F4 18000080
	v_mov_b32_e32 v236, 0                                      // 000000006368: 7FD80280
	v_accvgpr_write_b32 a245, 0                                // 00000000636C: D3D940F5 18000080
	v_mov_b32_e32 v237, 0                                      // 000000006374: 7FDA0280
	v_accvgpr_write_b32 a246, 0                                // 000000006378: D3D940F6 18000080
	v_mov_b32_e32 v238, 0                                      // 000000006380: 7FDC0280
	v_accvgpr_write_b32 a247, 0                                // 000000006384: D3D940F7 18000080
	v_mov_b32_e32 v239, 0                                      // 00000000638C: 7FDE0280
	v_accvgpr_write_b32 a248, 0                                // 000000006390: D3D940F8 18000080
	v_mov_b32_e32 v240, 0                                      // 000000006398: 7FE00280
	v_accvgpr_write_b32 a249, 0                                // 00000000639C: D3D940F9 18000080
	v_mov_b32_e32 v241, 0                                      // 0000000063A4: 7FE20280
	v_accvgpr_write_b32 a250, 0                                // 0000000063A8: D3D940FA 18000080
	v_mov_b32_e32 v242, 0                                      // 0000000063B0: 7FE40280
	v_accvgpr_write_b32 a251, 0                                // 0000000063B4: D3D940FB 18000080
	v_mov_b32_e32 v243, 0                                      // 0000000063BC: 7FE60280
	v_accvgpr_write_b32 a252, 0                                // 0000000063C0: D3D940FC 18000080
	v_mov_b32_e32 v244, 0                                      // 0000000063C8: 7FE80280
	v_accvgpr_write_b32 a253, 0                                // 0000000063CC: D3D940FD 18000080
	v_mov_b32_e32 v245, 0                                      // 0000000063D4: 7FEA0280
	v_accvgpr_write_b32 a254, 0                                // 0000000063D8: D3D940FE 18000080
	v_mov_b32_e32 v246, 0                                      // 0000000063E0: 7FEC0280
	v_accvgpr_write_b32 a255, 0                                // 0000000063E4: D3D940FF 18000080
	v_mov_b32_e32 v247, 0                                      // 0000000063EC: 7FEE0280
	v_mov_b32_e32 v136, 0                                      // 0000000063F0: 7F100280
	v_mov_b32_e32 v137, 0                                      // 0000000063F4: 7F120280
	v_mov_b32_e32 v138, 0                                      // 0000000063F8: 7F140280
	v_mov_b32_e32 v139, 0                                      // 0000000063FC: 7F160280
	v_mov_b32_e32 v140, 0                                      // 000000006400: 7F180280
	v_mov_b32_e32 v141, 0                                      // 000000006404: 7F1A0280
	v_mov_b32_e32 v142, 0                                      // 000000006408: 7F1C0280
	v_mov_b32_e32 v143, 0                                      // 00000000640C: 7F1E0280
	v_mov_b32_e32 v128, 0                                      // 000000006410: 7F000280
	v_mov_b32_e32 v129, 0                                      // 000000006414: 7F020280
	v_mov_b32_e32 v130, 0                                      // 000000006418: 7F040280
	v_mov_b32_e32 v131, 0                                      // 00000000641C: 7F060280
	v_mov_b32_e32 v132, 0                                      // 000000006420: 7F080280
	v_mov_b32_e32 v133, 0                                      // 000000006424: 7F0A0280
	v_mov_b32_e32 v134, 0                                      // 000000006428: 7F0C0280
	v_mov_b32_e32 v135, 0                                      // 00000000642C: 7F0E0280
	s_waitcnt lgkmcnt(0)                                       // 000000006430: BF8CC07F
	s_barrier                                                  // 000000006434: BF8A0000
	v_mov_b32_e32 v32, 0                                       // 000000006438: 7E400280
	s_mov_b64 exec, s[86:87]                                   // 00000000643C: BEFE0156
	buffer_load_dword v32, v1, s[8:11], 0 idxen                // 000000006440: E0502000 80022001
	s_mov_b64 exec, s[84:85]                                   // 000000006448: BEFE0154
	v_mov_b32_e32 v33, 0                                       // 00000000644C: 7E420280
	s_mov_b64 exec, s[86:87]                                   // 000000006450: BEFE0156
	buffer_load_dword v33, v2, s[8:11], 0 idxen                // 000000006454: E0502000 80022102
	s_mov_b64 exec, s[84:85]                                   // 00000000645C: BEFE0154
	v_mov_b32_e32 v34, 0                                       // 000000006460: 7E440280
	s_mov_b64 exec, s[86:87]                                   // 000000006464: BEFE0156
	buffer_load_dword v34, v3, s[8:11], 0 idxen                // 000000006468: E0502000 80022203
	s_mov_b64 exec, s[84:85]                                   // 000000006470: BEFE0154
	v_mov_b32_e32 v35, 0                                       // 000000006474: 7E460280
	s_mov_b64 exec, s[86:87]                                   // 000000006478: BEFE0156
	buffer_load_dword v35, v4, s[8:11], 0 idxen                // 00000000647C: E0502000 80022304
	s_mov_b64 exec, s[84:85]                                   // 000000006484: BEFE0154
	v_mov_b32_e32 v40, 0                                       // 000000006488: 7E500280
	s_mov_b64 exec, s[86:87]                                   // 00000000648C: BEFE0156
	buffer_load_dword v40, v248, s[20:23], 0 idxen             // 000000006490: E0502000 800528F8
	s_mov_b64 exec, s[84:85]                                   // 000000006498: BEFE0154
	v_mov_b32_e32 v41, 0                                       // 00000000649C: 7E520280
	s_mov_b64 exec, s[86:87]                                   // 0000000064A0: BEFE0156
	buffer_load_dword v41, v249, s[20:23], 0 idxen             // 0000000064A4: E0502000 800529F9
	s_mov_b64 exec, s[84:85]                                   // 0000000064AC: BEFE0154
	v_mov_b32_e32 v42, 0                                       // 0000000064B0: 7E540280
	s_mov_b64 exec, s[86:87]                                   // 0000000064B4: BEFE0156
	buffer_load_dword v42, v250, s[20:23], 0 idxen             // 0000000064B8: E0502000 80052AFA
	s_mov_b64 exec, s[84:85]                                   // 0000000064C0: BEFE0154
	v_mov_b32_e32 v43, 0                                       // 0000000064C4: 7E560280
	s_mov_b64 exec, s[86:87]                                   // 0000000064C8: BEFE0156
	buffer_load_dword v43, v251, s[20:23], 0 idxen             // 0000000064CC: E0502000 80052BFB
	s_mov_b64 exec, s[84:85]                                   // 0000000064D4: BEFE0154
	buffer_load_dword v9, s[24:27], 0 idxen lds                // 0000000064D8: E0512000 80060009
	s_mov_b32 m0, s75                                          // 0000000064E0: BEFC004B
	v_add_u32_e32 v9, s69, v9                                  // 0000000064E4: 68121245
	v_add_u32_e32 v1, s68, v1                                  // 0000000064E8: 68020244
	v_add_u32_e32 v2, s68, v2                                  // 0000000064EC: 68040444
	v_add_u32_e32 v3, s68, v3                                  // 0000000064F0: 68060644
	v_add_u32_e32 v4, s68, v4                                  // 0000000064F4: 68080844
	v_add_u32_e32 v248, s95, v248                              // 0000000064F8: 69F1F05F
	v_add_u32_e32 v249, s95, v249                              // 0000000064FC: 69F3F25F
	v_add_u32_e32 v250, s95, v250                              // 000000006500: 69F5F45F
	v_add_u32_e32 v251, s95, v251                              // 000000006504: 69F7F65F
	v_cmp_eq_u32_e32 vcc, v124, v151                           // 000000006508: 7D952F7C
	v_mov_b32_e32 v28, 0                                       // 00000000650C: 7E380280
	v_cndmask_b32_e32 v124, v124, v28, vcc                     // 000000006510: 00F8397C
	v_mul_f32_e32 v124, s48, v124                              // 000000006514: 0AF8F830
	v_perm_b32 v84, v37, v36, s63                              // 000000006518: D1ED0054 00FE4925
	v_perm_b32 v85, v37, v36, s64                              // 000000006520: D1ED0055 01024925
	v_perm_b32 v86, v39, v38, s63                              // 000000006528: D1ED0056 00FE4D27
	v_perm_b32 v87, v39, v38, s64                              // 000000006530: D1ED0057 01024D27
	v_perm_b32 v88, v45, v44, s63                              // 000000006538: D1ED0058 00FE592D
	v_perm_b32 v89, v45, v44, s64                              // 000000006540: D1ED0059 0102592D
	v_perm_b32 v90, v47, v46, s63                              // 000000006548: D1ED005A 00FE5D2F
	v_perm_b32 v91, v47, v46, s64                              // 000000006550: D1ED005B 01025D2F
	v_mov_b32_dpp v127, v124 quad_perm:[3,3,3,3] row_mask:0xf bank_mask:0xf// 000000006558: 7EFE02FA FF00FF7C
	v_mov_b32_dpp v126, v124 quad_perm:[2,2,2,2] row_mask:0xf bank_mask:0xf// 000000006560: 7EFC02FA FF00AA7C
	v_mov_b32_dpp v125, v124 quad_perm:[1,1,1,1] row_mask:0xf bank_mask:0xf// 000000006568: 7EFA02FA FF00557C
	v_mov_b32_dpp v124, v124 quad_perm:[0,0,0,0] row_mask:0xf bank_mask:0xf// 000000006570: 7EF802FA FF00007C
	s_waitcnt vmcnt(9)                                         // 000000006578: BF8C0F79
	s_barrier                                                  // 00000000657C: BF8A0000
	s_cmp_lt_i32 s46, 2                                        // 000000006580: BF04822E
	s_cbranch_scc0 label_11C6                                  // 000000006584: BF8407D8
	s_nop 0                                                    // 000000006588: BF800000
	s_nop 0                                                    // 00000000658C: BF800000

0000000000006590 <label_09E4>:
	s_waitcnt lgkmcnt(0)                                       // 000000006590: BF8CC07F
	s_barrier                                                  // 000000006594: BF8A0000
	v_mfma_f32_16x16x16_f16 v[48:51], a[144:145], a[0:1], 0    // 000000006598: D3CD0030 1A020190
	ds_write_b32 v11, v44 offset:8704                          // 0000000065A0: D81A2200 00002C0B
	ds_write_b32 v11, v45 offset:9760                          // 0000000065A8: D81A2620 00002D0B
	v_mfma_f32_16x16x16_f16 v[48:51], a[146:147], a[2:3], v[48:51]// 0000000065B0: D3CD0030 1CC20592
	v_mul_f32_e32 v128, s47, v128                              // 0000000065B8: 0B01002F
	v_mul_f32_e32 v129, s47, v129                              // 0000000065BC: 0B03022F
	v_mfma_f32_16x16x16_f16 v[48:51], a[148:149], a[4:5], v[48:51]// 0000000065C0: D3CD0030 1CC20994
	ds_write_b32 v11, v46 offset:8832                          // 0000000065C8: D81A2280 00002E0B
	ds_write_b32 v11, v47 offset:9888                          // 0000000065D0: D81A26A0 00002F0B
	v_mfma_f32_16x16x16_f16 v[48:51], a[150:151], a[6:7], v[48:51]// 0000000065D8: D3CD0030 1CC20D96
	v_mul_f32_e32 v130, s47, v130                              // 0000000065E0: 0B05042F
	v_mul_f32_e32 v131, s47, v131                              // 0000000065E4: 0B07062F
	v_mfma_f32_16x16x16_f16 v[48:51], a[152:153], a[8:9], v[48:51]// 0000000065E8: D3CD0030 1CC21198
	ds_write_b64 v20, v[128:129] offset:24320                  // 0000000065F0: D89A5F00 00008014
	v_mfma_f32_16x16x16_f16 v[48:51], a[154:155], a[10:11], v[48:51]// 0000000065F8: D3CD0030 1CC2159A
	v_mul_f32_e32 v132, s47, v132                              // 000000006600: 0B09082F
	v_mul_f32_e32 v133, s47, v133                              // 000000006604: 0B0B0A2F
	v_mfma_f32_16x16x16_f16 v[48:51], a[156:157], a[12:13], v[48:51]// 000000006608: D3CD0030 1CC2199C
	ds_write_b64 v20, v[130:131] offset:24832                  // 000000006610: D89A6100 00008214
	v_mfma_f32_16x16x16_f16 v[48:51], a[158:159], a[14:15], v[48:51]// 000000006618: D3CD0030 1CC21D9E
	v_mul_f32_e32 v134, s47, v134                              // 000000006620: 0B0D0C2F
	v_mul_f32_e32 v135, s47, v135                              // 000000006624: 0B0F0E2F
	v_mfma_f32_16x16x16_f16 v[52:55], a[144:145], a[16:17], 0  // 000000006628: D3CD0034 1A022190
	ds_write_b64 v20, v[132:133] offset:25344                  // 000000006630: D89A6300 00008414
	v_mfma_f32_16x16x16_f16 v[52:55], a[146:147], a[18:19], v[52:55]// 000000006638: D3CD0034 1CD22592
	buffer_atomic_add_f32 v140, v7, s[32:35], 0 offen offset:256// 000000006640: E1341100 80088C07
	v_mfma_f32_16x16x16_f16 v[52:55], a[148:149], a[20:21], v[52:55]// 000000006648: D3CD0034 1CD22994
	ds_write_b64 v20, v[134:135] offset:25856                  // 000000006650: D89A6500 00008614
	v_mfma_f32_16x16x16_f16 v[52:55], a[150:151], a[22:23], v[52:55]// 000000006658: D3CD0034 1CD22D96
	v_mfma_f32_16x16x16_f16 v[52:55], a[152:153], a[24:25], v[52:55]// 000000006660: D3CD0034 1CD23198
	ds_read_b128 v[108:111], v12 offset:13056                  // 000000006668: D9FE3300 6C00000C
	ds_write_b32 v11, v36                                      // 000000006670: D81A0000 0000240B
	v_mfma_f32_16x16x16_f16 v[52:55], a[154:155], a[26:27], v[52:55]// 000000006678: D3CD0034 1CD2359A
	buffer_atomic_add_f32 v141, v8, s[32:35], 0 offen offset:256// 000000006680: E1341100 80088D08
	v_mfma_f32_16x16x16_f16 v[52:55], a[156:157], a[28:29], v[52:55]// 000000006688: D3CD0034 1CD2399C
	v_mfma_f32_16x16x16_f16 v[52:55], a[158:159], a[30:31], v[52:55]// 000000006690: D3CD0034 1CD23D9E
	ds_read_b128 v[112:115], v12 offset:13568                  // 000000006698: D9FE3500 7000000C
	ds_write_b32 v11, v37 offset:1056                          // 0000000066A0: D81A0420 0000250B
	v_mfma_f32_16x16x16_f16 v[56:59], a[144:145], a[32:33], 0  // 0000000066A8: D3CD0038 1A024190
	buffer_atomic_add_f32 v142, v7, s[32:35], 0 offen offset:384// 0000000066B0: E1341180 80088E07
	v_mfma_f32_16x16x16_f16 v[56:59], a[146:147], a[34:35], v[56:59]// 0000000066B8: D3CD0038 1CE24592
	v_mfma_f32_16x16x16_f16 v[56:59], a[148:149], a[36:37], v[56:59]// 0000000066C0: D3CD0038 1CE24994
	ds_read_b128 v[116:119], v12 offset:15232                  // 0000000066C8: D9FE3B80 7400000C
	ds_write_b32 v11, v38 offset:128                           // 0000000066D0: D81A0080 0000260B
	v_mfma_f32_16x16x16_f16 v[56:59], a[150:151], a[38:39], v[56:59]// 0000000066D8: D3CD0038 1CE24D96
	v_mfma_f32_16x16x16_f16 v[56:59], a[152:153], a[40:41], v[56:59]// 0000000066E0: D3CD0038 1CE25198
	buffer_atomic_add_f32 v143, v8, s[32:35], 0 offen offset:384// 0000000066E8: E1341180 80088F08
	v_mfma_f32_16x16x16_f16 v[56:59], a[154:155], a[42:43], v[56:59]// 0000000066F0: D3CD0038 1CE2559A
	ds_read_b128 v[120:123], v12 offset:15744                  // 0000000066F8: D9FE3D80 7800000C
	ds_write_b32 v11, v39 offset:1184                          // 000000006700: D81A04A0 0000270B
	v_mfma_f32_16x16x16_f16 v[56:59], a[156:157], a[44:45], v[56:59]// 000000006708: D3CD0038 1CE2599C
	v_mfma_f32_16x16x16_f16 v[56:59], a[158:159], a[46:47], v[56:59]// 000000006710: D3CD0038 1CE25D9E
	s_add_i32 s82, s59, s97                                    // 000000006718: 8152613B
	s_sub_i32 s82, s82, 1                                      // 00000000671C: 81D28152
	s_add_i32 s81, s59, 16                                     // 000000006720: 8151903B
	s_sub_i32 s81, s81, s98                                    // 000000006724: 81D16251
	s_add_i32 s81, s81, 1                                      // 000000006728: 81518151
	s_branch label_0A4C                                        // 00000000672C: BF820000

0000000000006730 <label_0A4C>:
	s_add_i32 s62, 0, s46                                      // 000000006730: 813E2E80
	s_mul_i32 s62, s62, 16                                     // 000000006734: 923E903E
	s_add_i32 s62, s80, s62                                    // 000000006738: 813E3E50
	s_add_i32 s61, s62, 16                                     // 00000000673C: 813D903E
	s_add_i32 s61, s61, 16                                     // 000000006740: 813D903D
	s_cmp_lt_i32 s61, s81                                      // 000000006744: BF04513D
	s_cselect_b32 s60, 1, 0                                    // 000000006748: 853C8081
	s_sub_i32 s62, s62, 16                                     // 00000000674C: 81BE903E
	s_cmp_gt_i32 s62, s82                                      // 000000006750: BF02523E
	s_cselect_b32 s61, 1, 0                                    // 000000006754: 853D8081
	s_or_b32 s60, s60, s61                                     // 000000006758: 873C3D3C
	s_cmp_eq_i32 s60, 1                                        // 00000000675C: BF00813C
	s_cbranch_scc1 label_0ADF                                  // 000000006760: BF850085
	s_add_i32 s61, s62, 32                                     // 000000006764: 813DA03E
	s_add_i32 s62, s62, 16                                     // 000000006768: 813E903E
	s_cmp_lt_i32 s62, s81                                      // 00000000676C: BF04513E
	s_cselect_b32 s60, 1, 0                                    // 000000006770: 853C8081
	s_cmp_gt_i32 s61, s82                                      // 000000006774: BF02523D
	s_cselect_b32 s61, 1, 0                                    // 000000006778: 853D8081
	s_or_b32 s60, s60, s61                                     // 00000000677C: 873C3D3C
	s_cmp_eq_i32 s60, 1                                        // 000000006780: BF00813C
	s_cbranch_scc1 label_0A92                                  // 000000006784: BF85002F
	s_branch label_0A63                                        // 000000006788: BF820000

000000000000678c <label_0A63>:
	s_add_i32 s62, 4, s46                                      // 00000000678C: 813E2E84
	s_mul_i32 s62, s62, 16                                     // 000000006790: 923E903E
	s_add_i32 s62, s80, s62                                    // 000000006794: 813E3E50
	s_add_i32 s61, s62, 16                                     // 000000006798: 813D903E
	s_add_i32 s61, s61, 16                                     // 00000000679C: 813D903D
	s_cmp_lt_i32 s61, s81                                      // 0000000067A0: BF04513D
	s_cselect_b32 s60, 1, 0                                    // 0000000067A4: 853C8081
	s_sub_i32 s62, s62, 16                                     // 0000000067A8: 81BE903E
	s_cmp_gt_i32 s62, s82                                      // 0000000067AC: BF02523E
	s_cselect_b32 s61, 1, 0                                    // 0000000067B0: 853D8081
	s_or_b32 s60, s60, s61                                     // 0000000067B4: 873C3D3C
	s_cmp_eq_i32 s60, 1                                        // 0000000067B8: BF00813C
	s_cbranch_scc1 label_0B31                                  // 0000000067BC: BF8500C0
	s_add_i32 s61, s62, 32                                     // 0000000067C0: 813DA03E
	s_add_i32 s62, s62, 16                                     // 0000000067C4: 813E903E
	s_cmp_lt_i32 s62, s81                                      // 0000000067C8: BF04513E
	s_cselect_b32 s60, 1, 0                                    // 0000000067CC: 853C8081
	s_cmp_gt_i32 s61, s82                                      // 0000000067D0: BF02523D
	s_cselect_b32 s61, 1, 0                                    // 0000000067D4: 853D8081
	s_or_b32 s60, s60, s61                                     // 0000000067D8: 873C3D3C
	s_cmp_eq_i32 s60, 1                                        // 0000000067DC: BF00813C
	s_cbranch_scc1 label_0AE4                                  // 0000000067E0: BF85006A
	s_branch label_0A7A                                        // 0000000067E4: BF820000

00000000000067e8 <label_0A7A>:
	s_add_i32 s62, 8, s46                                      // 0000000067E8: 813E2E88
	s_mul_i32 s62, s62, 16                                     // 0000000067EC: 923E903E
	s_add_i32 s62, s80, s62                                    // 0000000067F0: 813E3E50
	s_add_i32 s61, s62, 16                                     // 0000000067F4: 813D903E
	s_add_i32 s61, s61, 16                                     // 0000000067F8: 813D903D
	s_cmp_lt_i32 s61, s81                                      // 0000000067FC: BF04513D
	s_cselect_b32 s60, 1, 0                                    // 000000006800: 853C8081
	s_sub_i32 s62, s62, 16                                     // 000000006804: 81BE903E
	s_cmp_gt_i32 s62, s82                                      // 000000006808: BF02523E
	s_cselect_b32 s61, 1, 0                                    // 00000000680C: 853D8081
	s_or_b32 s60, s60, s61                                     // 000000006810: 873C3D3C
	s_cmp_eq_i32 s60, 1                                        // 000000006814: BF00813C
	s_cbranch_scc1 label_0B83                                  // 000000006818: BF8500FB
	s_add_i32 s61, s62, 32                                     // 00000000681C: 813DA03E
	s_add_i32 s62, s62, 16                                     // 000000006820: 813E903E
	s_cmp_lt_i32 s62, s81                                      // 000000006824: BF04513E
	s_cselect_b32 s60, 1, 0                                    // 000000006828: 853C8081
	s_cmp_gt_i32 s61, s82                                      // 00000000682C: BF02523D
	s_cselect_b32 s61, 1, 0                                    // 000000006830: 853D8081
	s_or_b32 s60, s60, s61                                     // 000000006834: 873C3D3C
	s_cmp_eq_i32 s60, 1                                        // 000000006838: BF00813C
	s_cbranch_scc1 label_0B36                                  // 00000000683C: BF8500A5
	s_branch label_0B88                                        // 000000006840: BF8200F6

0000000000006844 <label_0A92>:
	v_and_b32_e32 v28, 15, v0                                  // 000000006844: 2638008F
	v_add_u32_e32 v28, s62, v28                                // 000000006848: 6838383E
	v_lshrrev_b32_e32 v29, 4, v0                               // 00000000684C: 203A0084
	v_lshlrev_b32_e32 v29, 2, v29                              // 000000006850: 243A3A82
	v_add_i32 v29, 0, v29                                      // 000000006854: D29C001D 00023A80
	v_add_i32 v29, s59, v29                                    // 00000000685C: D29C001D 00023A3B
	v_sub_i32 v29, v29, v28                                    // 000000006864: D29D001D 0002391D
	v_cmp_ge_i32_e64 vcc, v29, s98                             // 00000000686C: D0C6006A 0000C51D
	v_sub_i32 v29, 0, v29                                      // 000000006874: D29D001D 00023A80
	v_cndmask_b32_e32 v48, v48, v151, vcc                      // 00000000687C: 00612F30
	v_cmp_ge_i32_e64 vcc, v29, s97                             // 000000006880: D0C6006A 0000C31D
	s_nop 1                                                    // 000000006888: BF800001
	v_cndmask_b32_e32 v48, v48, v151, vcc                      // 00000000688C: 00612F30
	v_and_b32_e32 v28, 15, v0                                  // 000000006890: 2638008F
	v_add_u32_e32 v28, s62, v28                                // 000000006894: 6838383E
	v_lshrrev_b32_e32 v29, 4, v0                               // 000000006898: 203A0084
	v_lshlrev_b32_e32 v29, 2, v29                              // 00000000689C: 243A3A82
	v_add_i32 v29, 1, v29                                      // 0000000068A0: D29C001D 00023A81
	v_add_i32 v29, s59, v29                                    // 0000000068A8: D29C001D 00023A3B
	v_sub_i32 v29, v29, v28                                    // 0000000068B0: D29D001D 0002391D
	v_cmp_ge_i32_e64 vcc, v29, s98                             // 0000000068B8: D0C6006A 0000C51D
	v_sub_i32 v29, 0, v29                                      // 0000000068C0: D29D001D 00023A80
	v_cndmask_b32_e32 v49, v49, v151, vcc                      // 0000000068C8: 00632F31
	v_cmp_ge_i32_e64 vcc, v29, s97                             // 0000000068CC: D0C6006A 0000C31D
	s_nop 1                                                    // 0000000068D4: BF800001
	v_cndmask_b32_e32 v49, v49, v151, vcc                      // 0000000068D8: 00632F31
	v_and_b32_e32 v28, 15, v0                                  // 0000000068DC: 2638008F
	v_add_u32_e32 v28, s62, v28                                // 0000000068E0: 6838383E
	v_lshrrev_b32_e32 v29, 4, v0                               // 0000000068E4: 203A0084
	v_lshlrev_b32_e32 v29, 2, v29                              // 0000000068E8: 243A3A82
	v_add_i32 v29, 2, v29                                      // 0000000068EC: D29C001D 00023A82
	v_add_i32 v29, s59, v29                                    // 0000000068F4: D29C001D 00023A3B
	v_sub_i32 v29, v29, v28                                    // 0000000068FC: D29D001D 0002391D
	v_cmp_ge_i32_e64 vcc, v29, s98                             // 000000006904: D0C6006A 0000C51D
	v_sub_i32 v29, 0, v29                                      // 00000000690C: D29D001D 00023A80
	v_cndmask_b32_e32 v50, v50, v151, vcc                      // 000000006914: 00652F32
	v_cmp_ge_i32_e64 vcc, v29, s97                             // 000000006918: D0C6006A 0000C31D
	s_nop 1                                                    // 000000006920: BF800001
	v_cndmask_b32_e32 v50, v50, v151, vcc                      // 000000006924: 00652F32
	v_and_b32_e32 v28, 15, v0                                  // 000000006928: 2638008F
	v_add_u32_e32 v28, s62, v28                                // 00000000692C: 6838383E
	v_lshrrev_b32_e32 v29, 4, v0                               // 000000006930: 203A0084
	v_lshlrev_b32_e32 v29, 2, v29                              // 000000006934: 243A3A82
	v_add_i32 v29, 3, v29                                      // 000000006938: D29C001D 00023A83
	v_add_i32 v29, s59, v29                                    // 000000006940: D29C001D 00023A3B
	v_sub_i32 v29, v29, v28                                    // 000000006948: D29D001D 0002391D
	v_cmp_ge_i32_e64 vcc, v29, s98                             // 000000006950: D0C6006A 0000C51D
	v_sub_i32 v29, 0, v29                                      // 000000006958: D29D001D 00023A80
	v_cndmask_b32_e32 v51, v51, v151, vcc                      // 000000006960: 00672F33
	v_cmp_ge_i32_e64 vcc, v29, s97                             // 000000006964: D0C6006A 0000C31D
	s_nop 1                                                    // 00000000696C: BF800001
	v_cndmask_b32_e32 v51, v51, v151, vcc                      // 000000006970: 00672F33
	s_branch label_0A63                                        // 000000006974: BF82FF85

0000000000006978 <label_0ADF>:
	v_mov_b32_e32 v48, v151                                    // 000000006978: 7E600397
	v_mov_b32_e32 v49, v151                                    // 00000000697C: 7E620397
	v_mov_b32_e32 v50, v151                                    // 000000006980: 7E640397
	v_mov_b32_e32 v51, v151                                    // 000000006984: 7E660397
	s_branch label_0A63                                        // 000000006988: BF82FF80

000000000000698c <label_0AE4>:
	v_and_b32_e32 v28, 15, v0                                  // 00000000698C: 2638008F
	v_add_u32_e32 v28, s62, v28                                // 000000006990: 6838383E
	v_lshrrev_b32_e32 v29, 4, v0                               // 000000006994: 203A0084
	v_lshlrev_b32_e32 v29, 2, v29                              // 000000006998: 243A3A82
	v_add_i32 v29, 0, v29                                      // 00000000699C: D29C001D 00023A80
	v_add_i32 v29, s59, v29                                    // 0000000069A4: D29C001D 00023A3B
	v_sub_i32 v29, v29, v28                                    // 0000000069AC: D29D001D 0002391D
	v_cmp_ge_i32_e64 vcc, v29, s98                             // 0000000069B4: D0C6006A 0000C51D
	v_sub_i32 v29, 0, v29                                      // 0000000069BC: D29D001D 00023A80
	v_cndmask_b32_e32 v52, v52, v151, vcc                      // 0000000069C4: 00692F34
	v_cmp_ge_i32_e64 vcc, v29, s97                             // 0000000069C8: D0C6006A 0000C31D
	s_nop 1                                                    // 0000000069D0: BF800001
	v_cndmask_b32_e32 v52, v52, v151, vcc                      // 0000000069D4: 00692F34
	v_and_b32_e32 v28, 15, v0                                  // 0000000069D8: 2638008F
	v_add_u32_e32 v28, s62, v28                                // 0000000069DC: 6838383E
	v_lshrrev_b32_e32 v29, 4, v0                               // 0000000069E0: 203A0084
	v_lshlrev_b32_e32 v29, 2, v29                              // 0000000069E4: 243A3A82
	v_add_i32 v29, 1, v29                                      // 0000000069E8: D29C001D 00023A81
	v_add_i32 v29, s59, v29                                    // 0000000069F0: D29C001D 00023A3B
	v_sub_i32 v29, v29, v28                                    // 0000000069F8: D29D001D 0002391D
	v_cmp_ge_i32_e64 vcc, v29, s98                             // 000000006A00: D0C6006A 0000C51D
	v_sub_i32 v29, 0, v29                                      // 000000006A08: D29D001D 00023A80
	v_cndmask_b32_e32 v53, v53, v151, vcc                      // 000000006A10: 006B2F35
	v_cmp_ge_i32_e64 vcc, v29, s97                             // 000000006A14: D0C6006A 0000C31D
	s_nop 1                                                    // 000000006A1C: BF800001
	v_cndmask_b32_e32 v53, v53, v151, vcc                      // 000000006A20: 006B2F35
	v_and_b32_e32 v28, 15, v0                                  // 000000006A24: 2638008F
	v_add_u32_e32 v28, s62, v28                                // 000000006A28: 6838383E
	v_lshrrev_b32_e32 v29, 4, v0                               // 000000006A2C: 203A0084
	v_lshlrev_b32_e32 v29, 2, v29                              // 000000006A30: 243A3A82
	v_add_i32 v29, 2, v29                                      // 000000006A34: D29C001D 00023A82
	v_add_i32 v29, s59, v29                                    // 000000006A3C: D29C001D 00023A3B
	v_sub_i32 v29, v29, v28                                    // 000000006A44: D29D001D 0002391D
	v_cmp_ge_i32_e64 vcc, v29, s98                             // 000000006A4C: D0C6006A 0000C51D
	v_sub_i32 v29, 0, v29                                      // 000000006A54: D29D001D 00023A80
	v_cndmask_b32_e32 v54, v54, v151, vcc                      // 000000006A5C: 006D2F36
	v_cmp_ge_i32_e64 vcc, v29, s97                             // 000000006A60: D0C6006A 0000C31D
	s_nop 1                                                    // 000000006A68: BF800001
	v_cndmask_b32_e32 v54, v54, v151, vcc                      // 000000006A6C: 006D2F36
	v_and_b32_e32 v28, 15, v0                                  // 000000006A70: 2638008F
	v_add_u32_e32 v28, s62, v28                                // 000000006A74: 6838383E
	v_lshrrev_b32_e32 v29, 4, v0                               // 000000006A78: 203A0084
	v_lshlrev_b32_e32 v29, 2, v29                              // 000000006A7C: 243A3A82
	v_add_i32 v29, 3, v29                                      // 000000006A80: D29C001D 00023A83
	v_add_i32 v29, s59, v29                                    // 000000006A88: D29C001D 00023A3B
	v_sub_i32 v29, v29, v28                                    // 000000006A90: D29D001D 0002391D
	v_cmp_ge_i32_e64 vcc, v29, s98                             // 000000006A98: D0C6006A 0000C51D
	v_sub_i32 v29, 0, v29                                      // 000000006AA0: D29D001D 00023A80
	v_cndmask_b32_e32 v55, v55, v151, vcc                      // 000000006AA8: 006F2F37
	v_cmp_ge_i32_e64 vcc, v29, s97                             // 000000006AAC: D0C6006A 0000C31D
	s_nop 1                                                    // 000000006AB4: BF800001
	v_cndmask_b32_e32 v55, v55, v151, vcc                      // 000000006AB8: 006F2F37
	s_branch label_0A7A                                        // 000000006ABC: BF82FF4A

0000000000006ac0 <label_0B31>:
	v_mov_b32_e32 v52, v151                                    // 000000006AC0: 7E680397
	v_mov_b32_e32 v53, v151                                    // 000000006AC4: 7E6A0397
	v_mov_b32_e32 v54, v151                                    // 000000006AC8: 7E6C0397
	v_mov_b32_e32 v55, v151                                    // 000000006ACC: 7E6E0397
	s_branch label_0A7A                                        // 000000006AD0: BF82FF45

0000000000006ad4 <label_0B36>:
	v_and_b32_e32 v28, 15, v0                                  // 000000006AD4: 2638008F
	v_add_u32_e32 v28, s62, v28                                // 000000006AD8: 6838383E
	v_lshrrev_b32_e32 v29, 4, v0                               // 000000006ADC: 203A0084
	v_lshlrev_b32_e32 v29, 2, v29                              // 000000006AE0: 243A3A82
	v_add_i32 v29, 0, v29                                      // 000000006AE4: D29C001D 00023A80
	v_add_i32 v29, s59, v29                                    // 000000006AEC: D29C001D 00023A3B
	v_sub_i32 v29, v29, v28                                    // 000000006AF4: D29D001D 0002391D
	v_cmp_ge_i32_e64 vcc, v29, s98                             // 000000006AFC: D0C6006A 0000C51D
	v_sub_i32 v29, 0, v29                                      // 000000006B04: D29D001D 00023A80
	v_cndmask_b32_e32 v56, v56, v151, vcc                      // 000000006B0C: 00712F38
	v_cmp_ge_i32_e64 vcc, v29, s97                             // 000000006B10: D0C6006A 0000C31D
	s_nop 1                                                    // 000000006B18: BF800001
	v_cndmask_b32_e32 v56, v56, v151, vcc                      // 000000006B1C: 00712F38
	v_and_b32_e32 v28, 15, v0                                  // 000000006B20: 2638008F
	v_add_u32_e32 v28, s62, v28                                // 000000006B24: 6838383E
	v_lshrrev_b32_e32 v29, 4, v0                               // 000000006B28: 203A0084
	v_lshlrev_b32_e32 v29, 2, v29                              // 000000006B2C: 243A3A82
	v_add_i32 v29, 1, v29                                      // 000000006B30: D29C001D 00023A81
	v_add_i32 v29, s59, v29                                    // 000000006B38: D29C001D 00023A3B
	v_sub_i32 v29, v29, v28                                    // 000000006B40: D29D001D 0002391D
	v_cmp_ge_i32_e64 vcc, v29, s98                             // 000000006B48: D0C6006A 0000C51D
	v_sub_i32 v29, 0, v29                                      // 000000006B50: D29D001D 00023A80
	v_cndmask_b32_e32 v57, v57, v151, vcc                      // 000000006B58: 00732F39
	v_cmp_ge_i32_e64 vcc, v29, s97                             // 000000006B5C: D0C6006A 0000C31D
	s_nop 1                                                    // 000000006B64: BF800001
	v_cndmask_b32_e32 v57, v57, v151, vcc                      // 000000006B68: 00732F39
	v_and_b32_e32 v28, 15, v0                                  // 000000006B6C: 2638008F
	v_add_u32_e32 v28, s62, v28                                // 000000006B70: 6838383E
	v_lshrrev_b32_e32 v29, 4, v0                               // 000000006B74: 203A0084
	v_lshlrev_b32_e32 v29, 2, v29                              // 000000006B78: 243A3A82
	v_add_i32 v29, 2, v29                                      // 000000006B7C: D29C001D 00023A82
	v_add_i32 v29, s59, v29                                    // 000000006B84: D29C001D 00023A3B
	v_sub_i32 v29, v29, v28                                    // 000000006B8C: D29D001D 0002391D
	v_cmp_ge_i32_e64 vcc, v29, s98                             // 000000006B94: D0C6006A 0000C51D
	v_sub_i32 v29, 0, v29                                      // 000000006B9C: D29D001D 00023A80
	v_cndmask_b32_e32 v58, v58, v151, vcc                      // 000000006BA4: 00752F3A
	v_cmp_ge_i32_e64 vcc, v29, s97                             // 000000006BA8: D0C6006A 0000C31D
	s_nop 1                                                    // 000000006BB0: BF800001
	v_cndmask_b32_e32 v58, v58, v151, vcc                      // 000000006BB4: 00752F3A
	v_and_b32_e32 v28, 15, v0                                  // 000000006BB8: 2638008F
	v_add_u32_e32 v28, s62, v28                                // 000000006BBC: 6838383E
	v_lshrrev_b32_e32 v29, 4, v0                               // 000000006BC0: 203A0084
	v_lshlrev_b32_e32 v29, 2, v29                              // 000000006BC4: 243A3A82
	v_add_i32 v29, 3, v29                                      // 000000006BC8: D29C001D 00023A83
	v_add_i32 v29, s59, v29                                    // 000000006BD0: D29C001D 00023A3B
	v_sub_i32 v29, v29, v28                                    // 000000006BD8: D29D001D 0002391D
	v_cmp_ge_i32_e64 vcc, v29, s98                             // 000000006BE0: D0C6006A 0000C51D
	v_sub_i32 v29, 0, v29                                      // 000000006BE8: D29D001D 00023A80
	v_cndmask_b32_e32 v59, v59, v151, vcc                      // 000000006BF0: 00772F3B
	v_cmp_ge_i32_e64 vcc, v29, s97                             // 000000006BF4: D0C6006A 0000C31D
	s_nop 1                                                    // 000000006BFC: BF800001
	v_cndmask_b32_e32 v59, v59, v151, vcc                      // 000000006C00: 00772F3B
	s_branch label_0B88                                        // 000000006C04: BF820005

0000000000006c08 <label_0B83>:
	v_mov_b32_e32 v56, v151                                    // 000000006C08: 7E700397
	v_mov_b32_e32 v57, v151                                    // 000000006C0C: 7E720397
	v_mov_b32_e32 v58, v151                                    // 000000006C10: 7E740397
	v_mov_b32_e32 v59, v151                                    // 000000006C14: 7E760397
	s_branch label_0B88                                        // 000000006C18: BF820000

0000000000006c1c <label_0B88>:
	s_cmp_lt_i32 s100, 0xc0                                    // 000000006C1C: BF04FF64 000000C0
	s_cbranch_scc0 label_0BDD                                  // 000000006C24: BF84004D
	s_cmp_le_i32 s100, 64                                      // 000000006C28: BF05C064
	s_cbranch_scc1 label_0B94                                  // 000000006C2C: BF850007
	s_cmp_le_i32 s100, 0x80                                    // 000000006C30: BF05FF64 00000080
	s_cbranch_scc1 label_0BAC                                  // 000000006C38: BF850017
	s_cmp_lt_i32 s100, 0xc0                                    // 000000006C3C: BF04FF64 000000C0
	s_cbranch_scc1 label_0BC4                                  // 000000006C44: BF85002C
	s_branch label_0BDD                                        // 000000006C48: BF820044

0000000000006c4c <label_0B94>:
	s_mov_b32 s60, 0                                           // 000000006C4C: BEBC0080
	v_and_b32_e32 v28, 15, v0                                  // 000000006C50: 2638008F
	v_add_u32_e64 v28, v28, s60                                // 000000006C54: D134001C 0000791C
	v_mul_i32_i24_e64 v29, s46, 16                             // 000000006C5C: D106001D 0001202E
	v_add_u32_e32 v28, v28, v29                                // 000000006C64: 68383B1C
	v_cmp_lt_u32_e64 s[60:61], v28, s100                       // 000000006C68: D0C9003C 0000C91C
	s_nop 1                                                    // 000000006C70: BF800001
	v_cndmask_b32_e64 v48, v151, v48, s[60:61]                 // 000000006C74: D1000030 00F26197
	v_cndmask_b32_e64 v49, v151, v49, s[60:61]                 // 000000006C7C: D1000031 00F26397
	v_cndmask_b32_e64 v50, v151, v50, s[60:61]                 // 000000006C84: D1000032 00F26597
	v_cndmask_b32_e64 v51, v151, v51, s[60:61]                 // 000000006C8C: D1000033 00F26797
	s_branch label_0BBF                                        // 000000006C94: BF820013

0000000000006c98 <label_0BAC>:
	s_mov_b32 s60, 64                                          // 000000006C98: BEBC00C0
	v_and_b32_e32 v28, 15, v0                                  // 000000006C9C: 2638008F
	v_add_u32_e64 v28, v28, s60                                // 000000006CA0: D134001C 0000791C
	v_mul_i32_i24_e64 v29, s46, 16                             // 000000006CA8: D106001D 0001202E
	v_add_u32_e32 v28, v28, v29                                // 000000006CB0: 68383B1C
	v_cmp_lt_u32_e64 s[60:61], v28, s100                       // 000000006CB4: D0C9003C 0000C91C
	s_nop 1                                                    // 000000006CBC: BF800001
	v_cndmask_b32_e64 v52, v151, v52, s[60:61]                 // 000000006CC0: D1000034 00F26997
	v_cndmask_b32_e64 v53, v151, v53, s[60:61]                 // 000000006CC8: D1000035 00F26B97
	v_cndmask_b32_e64 v54, v151, v54, s[60:61]                 // 000000006CD0: D1000036 00F26D97
	v_cndmask_b32_e64 v55, v151, v55, s[60:61]                 // 000000006CD8: D1000037 00F26F97
	s_branch label_0BD8                                        // 000000006CE0: BF820019

0000000000006ce4 <label_0BBF>:
	v_mov_b32_e32 v52, v151                                    // 000000006CE4: 7E680397
	v_mov_b32_e32 v53, v151                                    // 000000006CE8: 7E6A0397
	v_mov_b32_e32 v54, v151                                    // 000000006CEC: 7E6C0397
	v_mov_b32_e32 v55, v151                                    // 000000006CF0: 7E6E0397
	s_branch label_0BD8                                        // 000000006CF4: BF820014

0000000000006cf8 <label_0BC4>:
	s_mov_b32 s60, 0x80                                        // 000000006CF8: BEBC00FF 00000080
	v_and_b32_e32 v28, 15, v0                                  // 000000006D00: 2638008F
	v_add_u32_e64 v28, v28, s60                                // 000000006D04: D134001C 0000791C
	v_mul_i32_i24_e64 v29, s46, 16                             // 000000006D0C: D106001D 0001202E
	v_add_u32_e32 v28, v28, v29                                // 000000006D14: 68383B1C
	v_cmp_lt_u32_e64 s[60:61], v28, s100                       // 000000006D18: D0C9003C 0000C91C
	s_nop 1                                                    // 000000006D20: BF800001
	v_cndmask_b32_e64 v56, v151, v56, s[60:61]                 // 000000006D24: D1000038 00F27197
	v_cndmask_b32_e64 v57, v151, v57, s[60:61]                 // 000000006D2C: D1000039 00F27397
	v_cndmask_b32_e64 v58, v151, v58, s[60:61]                 // 000000006D34: D100003A 00F27597
	v_cndmask_b32_e64 v59, v151, v59, s[60:61]                 // 000000006D3C: D100003B 00F27797
	s_branch label_0BDD                                        // 000000006D44: BF820005

0000000000006d48 <label_0BD8>:
	v_mov_b32_e32 v56, v151                                    // 000000006D48: 7E700397
	v_mov_b32_e32 v57, v151                                    // 000000006D4C: 7E720397
	v_mov_b32_e32 v58, v151                                    // 000000006D50: 7E740397
	v_mov_b32_e32 v59, v151                                    // 000000006D54: 7E760397
	s_branch label_0BDD                                        // 000000006D58: BF820000

0000000000006d5c <label_0BDD>:
	s_waitcnt lgkmcnt(8)                                       // 000000006D5C: BF8CC87F
	s_barrier                                                  // 000000006D60: BF8A0000
	v_mfma_f32_16x16x16_f16 v[72:75], v[92:93], a[96:97], 0    // 000000006D64: D3CD0048 1202C15C
	ds_read_b128 a[144:147], v12 offset:4352                   // 000000006D6C: DBFE1100 9000000C
	ds_read_b128 a[148:151], v12 offset:4864                   // 000000006D74: DBFE1300 9400000C
	v_mfma_f32_16x16x16_f16 v[72:75], v[94:95], a[98:99], v[72:75]// 000000006D7C: D3CD0048 1522C55E
	v_fma_f32 v48, v48, s57, -v124                             // 000000006D84: D1CB0030 85F07330
	v_fma_f32 v49, v49, s57, -v125                             // 000000006D8C: D1CB0031 85F47331
	v_fma_f32 v50, v50, s57, -v126                             // 000000006D94: D1CB0032 85F87332
	v_mfma_f32_16x16x16_f16 v[72:75], v[96:97], a[100:101], v[72:75]// 000000006D9C: D3CD0048 1522C960
	v_fma_f32 v51, v51, s57, -v127                             // 000000006DA4: D1CB0033 85FC7333
	v_fma_f32 v52, v52, s57, -v124                             // 000000006DAC: D1CB0034 85F07334
	v_fma_f32 v53, v53, s57, -v125                             // 000000006DB4: D1CB0035 85F47335
	v_mfma_f32_16x16x16_f16 v[72:75], v[98:99], a[102:103], v[72:75]// 000000006DBC: D3CD0048 1522CD62
	v_fma_f32 v54, v54, s57, -v126                             // 000000006DC4: D1CB0036 85F87336
	v_fma_f32 v55, v55, s57, -v127                             // 000000006DCC: D1CB0037 85FC7337
	v_fma_f32 v56, v56, s57, -v124                             // 000000006DD4: D1CB0038 85F07338
	v_mfma_f32_16x16x16_f16 v[72:75], v[100:101], a[104:105], v[72:75]// 000000006DDC: D3CD0048 1522D164
	ds_read_b128 a[152:155], v12 offset:6528                   // 000000006DE4: DBFE1980 9800000C
	ds_read_b128 a[156:159], v12 offset:7040                   // 000000006DEC: DBFE1B80 9C00000C
	v_mfma_f32_16x16x16_f16 v[72:75], v[102:103], a[106:107], v[72:75]// 000000006DF4: D3CD0048 1522D566
	v_fma_f32 v57, v57, s57, -v125                             // 000000006DFC: D1CB0039 85F47339
	v_fma_f32 v58, v58, s57, -v126                             // 000000006E04: D1CB003A 85F8733A
	v_fma_f32 v59, v59, s57, -v127                             // 000000006E0C: D1CB003B 85FC733B
	v_mfma_f32_16x16x16_f16 v[72:75], v[104:105], a[108:109], v[72:75]// 000000006E14: D3CD0048 1522D968
	v_exp_f32_e32 v48, v48                                     // 000000006E1C: 7E604130
	v_mfma_f32_16x16x16_f16 v[72:75], v[106:107], a[110:111], v[72:75]// 000000006E20: D3CD0048 1522DD6A
	v_exp_f32_e32 v49, v49                                     // 000000006E28: 7E624131
	v_mfma_f32_16x16x16_f16 v[76:79], v[92:93], a[112:113], 0  // 000000006E2C: D3CD004C 1202E15C
	ds_read_b64 v[136:137], v19 offset:24320                   // 000000006E34: D8EC5F00 88000013
	ds_read_b64 v[138:139], v19 offset:26368                   // 000000006E3C: D8EC6700 8A000013
	v_mfma_f32_16x16x16_f16 v[76:79], v[94:95], a[114:115], v[76:79]// 000000006E44: D3CD004C 1532E55E
	v_exp_f32_e32 v50, v50                                     // 000000006E4C: 7E644132
	v_mfma_f32_16x16x16_f16 v[76:79], v[96:97], a[116:117], v[76:79]// 000000006E50: D3CD004C 1532E960
	ds_read_b64 v[140:141], v19 offset:28416                   // 000000006E58: D8EC6F00 8C000013
	ds_read_b64 v[142:143], v19 offset:30464                   // 000000006E60: D8EC7700 8E000013
	v_mfma_f32_16x16x16_f16 v[76:79], v[98:99], a[118:119], v[76:79]// 000000006E68: D3CD004C 1532ED62
	v_exp_f32_e32 v51, v51                                     // 000000006E70: 7E664133
	v_mfma_f32_16x16x16_f16 v[76:79], v[100:101], a[120:121], v[76:79]// 000000006E74: D3CD004C 1532F164
	v_exp_f32_e32 v52, v52                                     // 000000006E7C: 7E684134
	v_mfma_f32_16x16x16_f16 v[76:79], v[102:103], a[122:123], v[76:79]// 000000006E80: D3CD004C 1532F566
	v_exp_f32_e32 v53, v53                                     // 000000006E88: 7E6A4135
	v_mfma_f32_16x16x16_f16 v[76:79], v[104:105], a[124:125], v[76:79]// 000000006E8C: D3CD004C 1532F968
	v_exp_f32_e32 v54, v54                                     // 000000006E94: 7E6C4136
	v_mfma_f32_16x16x16_f16 v[76:79], v[106:107], a[126:127], v[76:79]// 000000006E98: D3CD004C 1532FD6A
	v_exp_f32_e32 v55, v55                                     // 000000006EA0: 7E6E4137
	v_mfma_f32_16x16x16_f16 v[80:83], v[92:93], a[128:129], 0  // 000000006EA4: D3CD0050 1203015C
	v_exp_f32_e32 v56, v56                                     // 000000006EAC: 7E704138
	v_mfma_f32_16x16x16_f16 v[80:83], v[94:95], a[130:131], v[80:83]// 000000006EB0: D3CD0050 1543055E
	v_exp_f32_e32 v57, v57                                     // 000000006EB8: 7E724139
	v_mfma_f32_16x16x16_f16 v[80:83], v[96:97], a[132:133], v[80:83]// 000000006EBC: D3CD0050 15430960
	v_exp_f32_e32 v58, v58                                     // 000000006EC4: 7E74413A
	v_mfma_f32_16x16x16_f16 v[80:83], v[98:99], a[134:135], v[80:83]// 000000006EC8: D3CD0050 15430D62
	v_exp_f32_e32 v59, v59                                     // 000000006ED0: 7E76413B
	v_mfma_f32_16x16x16_f16 v[80:83], v[100:101], a[136:137], v[80:83]// 000000006ED4: D3CD0050 15431164
	v_cvt_pkrtz_f16_f32 v144, v48, v49                         // 000000006EDC: D2960090 00026330
	v_cvt_pkrtz_f16_f32 v145, v50, v51                         // 000000006EE4: D2960091 00026732
	v_cvt_pkrtz_f16_f32 v146, v52, v53                         // 000000006EEC: D2960092 00026B34
	v_mfma_f32_16x16x16_f16 v[80:83], v[102:103], a[138:139], v[80:83]// 000000006EF4: D3CD0050 15431566
	v_cvt_pkrtz_f16_f32 v147, v54, v55                         // 000000006EFC: D2960093 00026F36
	v_cvt_pkrtz_f16_f32 v148, v56, v57                         // 000000006F04: D2960094 00027338
	v_cvt_pkrtz_f16_f32 v149, v58, v59                         // 000000006F0C: D2960095 0002773A
	v_mfma_f32_16x16x16_f16 v[80:83], v[104:105], a[140:141], v[80:83]// 000000006F14: D3CD0050 15431968
	v_add_u32_e32 v7, s66, v7                                  // 000000006F1C: 680E0E42
	v_add_u32_e32 v8, s66, v8                                  // 000000006F20: 68101042
	v_mfma_f32_16x16x16_f16 v[80:83], v[106:107], a[142:143], v[80:83]// 000000006F24: D3CD0050 15431D6A
	s_waitcnt lgkmcnt(0)                                       // 000000006F2C: BF8CC07F
	s_barrier                                                  // 000000006F30: BF8A0000
	v_mfma_f32_16x16x16_f16 v[152:155], v[108:109], v[144:145], v[152:155]// 000000006F34: D3CD0098 0663216C
	v_subrev_f32_dpp v72, v150, v72 quad_perm:[0,0,0,0] row_mask:0xf bank_mask:0xf// 000000006F3C: 069090FA FF000096
	v_subrev_f32_dpp v73, v150, v73 quad_perm:[1,1,1,1] row_mask:0xf bank_mask:0xf// 000000006F44: 069292FA FF005596
	v_subrev_f32_dpp v74, v150, v74 quad_perm:[2,2,2,2] row_mask:0xf bank_mask:0xf// 000000006F4C: 069494FA FF00AA96
	v_mfma_f32_16x16x16_f16 v[156:159], v[110:111], v[144:145], v[156:159]// 000000006F54: D3CD009C 0673216E
	v_subrev_f32_dpp v75, v150, v75 quad_perm:[3,3,3,3] row_mask:0xf bank_mask:0xf// 000000006F5C: 069696FA FF00FF96
	v_subrev_f32_dpp v76, v150, v76 quad_perm:[0,0,0,0] row_mask:0xf bank_mask:0xf// 000000006F64: 069898FA FF000096
	v_subrev_f32_dpp v77, v150, v77 quad_perm:[1,1,1,1] row_mask:0xf bank_mask:0xf// 000000006F6C: 069A9AFA FF005596
	v_mfma_f32_16x16x16_f16 v[160:163], v[112:113], v[144:145], v[160:163]// 000000006F74: D3CD00A0 06832170
	v_mul_f32_e32 v72, v48, v72                                // 000000006F7C: 0A909130
	v_mul_f32_e32 v73, v49, v73                                // 000000006F80: 0A929331
	v_mul_f32_e32 v74, v50, v74                                // 000000006F84: 0A949532
	v_mfma_f32_16x16x16_f16 v[164:167], v[114:115], v[144:145], v[164:167]// 000000006F88: D3CD00A4 06932172
	v_mul_f32_e32 v75, v51, v75                                // 000000006F90: 0A969733
	v_mul_f32_e32 v76, v52, v76                                // 000000006F94: 0A989934
	v_mul_f32_e32 v77, v53, v77                                // 000000006F98: 0A9A9B35
	v_mfma_f32_16x16x16_f16 v[168:171], v[116:117], v[144:145], v[168:171]// 000000006F9C: D3CD00A8 06A32174
	v_cvt_pkrtz_f16_f32 v72, v72, v73                          // 000000006FA4: D2960048 00029348
	v_cvt_pkrtz_f16_f32 v73, v74, v75                          // 000000006FAC: D2960049 0002974A
	v_cvt_pkrtz_f16_f32 v74, v76, v77                          // 000000006FB4: D296004A 00029B4C
	v_mfma_f32_16x16x16_f16 v[172:175], v[118:119], v[144:145], v[172:175]// 000000006FBC: D3CD00AC 06B32176
	v_mov_b32_dpp v16, v72 quad_perm:[1,0,3,2] row_mask:0xf bank_mask:0xf// 000000006FC4: 7E2002FA FF00B148
	v_perm_b32 v48, v16, v72, v15                              // 000000006FCC: D1ED0030 043E9110
	v_mov_b32_dpp v16, v73 quad_perm:[1,0,3,2] row_mask:0xf bank_mask:0xf// 000000006FD4: 7E2002FA FF00B149
	v_mfma_f32_16x16x16_f16 v[176:179], v[120:121], v[144:145], v[176:179]// 000000006FDC: D3CD00B0 06C32178
	v_perm_b32 v49, v16, v73, v15                              // 000000006FE4: D1ED0031 043E9310
	v_mov_b32_dpp v16, v74 quad_perm:[1,0,3,2] row_mask:0xf bank_mask:0xf// 000000006FEC: 7E2002FA FF00B14A
	v_perm_b32 v50, v16, v74, v15                              // 000000006FF4: D1ED0032 043E9510
	v_mfma_f32_16x16x16_f16 v[180:183], v[122:123], v[144:145], v[180:183]// 000000006FFC: D3CD00B4 06D3217A
	ds_write_b32 v18, v48 offset:17408                         // 000000007004: D81A4400 00003012
	v_mfma_f32_16x16x16_f16 v[184:187], v[108:109], v[146:147], v[184:187]// 00000000700C: D3CD00B8 06E3256C
	v_subrev_f32_dpp v78, v150, v78 quad_perm:[2,2,2,2] row_mask:0xf bank_mask:0xf// 000000007014: 069C9CFA FF00AA96
	v_subrev_f32_dpp v79, v150, v79 quad_perm:[3,3,3,3] row_mask:0xf bank_mask:0xf// 00000000701C: 069E9EFA FF00FF96
	v_subrev_f32_dpp v80, v150, v80 quad_perm:[0,0,0,0] row_mask:0xf bank_mask:0xf// 000000007024: 06A0A0FA FF000096
	v_mfma_f32_16x16x16_f16 v[188:191], v[110:111], v[146:147], v[188:191]// 00000000702C: D3CD00BC 06F3256E
	ds_write_b32 v18, v49 offset:17952                         // 000000007034: D81A4620 00003112
	v_mfma_f32_16x16x16_f16 v[192:195], v[112:113], v[146:147], v[192:195]// 00000000703C: D3CD00C0 07032570
	v_subrev_f32_dpp v81, v150, v81 quad_perm:[1,1,1,1] row_mask:0xf bank_mask:0xf// 000000007044: 06A2A2FA FF005596
	v_subrev_f32_dpp v82, v150, v82 quad_perm:[2,2,2,2] row_mask:0xf bank_mask:0xf// 00000000704C: 06A4A4FA FF00AA96
	v_subrev_f32_dpp v83, v150, v83 quad_perm:[3,3,3,3] row_mask:0xf bank_mask:0xf// 000000007054: 06A6A6FA FF00FF96
	v_mfma_f32_16x16x16_f16 v[196:199], v[114:115], v[146:147], v[196:199]// 00000000705C: D3CD00C4 07132572
	ds_write_b32 v18, v50 offset:19712                         // 000000007064: D81A4D00 00003212
	v_mfma_f32_16x16x16_f16 v[200:203], v[116:117], v[146:147], v[200:203]// 00000000706C: D3CD00C8 07232574
	v_mul_f32_e32 v78, v54, v78                                // 000000007074: 0A9C9D36
	v_mul_f32_e32 v79, v55, v79                                // 000000007078: 0A9E9F37
	v_mul_f32_e32 v80, v56, v80                                // 00000000707C: 0AA0A138
	v_mfma_f32_16x16x16_f16 v[204:207], v[118:119], v[146:147], v[204:207]// 000000007080: D3CD00CC 07332576
	v_mul_f32_e32 v81, v57, v81                                // 000000007088: 0AA2A339
	v_mul_f32_e32 v82, v58, v82                                // 00000000708C: 0AA4A53A
	v_mul_f32_e32 v83, v59, v83                                // 000000007090: 0AA6A73B
	v_mfma_f32_16x16x16_f16 v[208:211], v[120:121], v[146:147], v[208:211]// 000000007094: D3CD00D0 07432578
	v_cvt_pkrtz_f16_f32 v75, v78, v79                          // 00000000709C: D296004B 00029F4E
	v_cvt_pkrtz_f16_f32 v76, v80, v81                          // 0000000070A4: D296004C 0002A350
	v_cvt_pkrtz_f16_f32 v77, v82, v83                          // 0000000070AC: D296004D 0002A752
	v_mfma_f32_16x16x16_f16 v[212:215], v[122:123], v[146:147], v[212:215]// 0000000070B4: D3CD00D4 0753257A
	v_mov_b32_dpp v16, v75 quad_perm:[1,0,3,2] row_mask:0xf bank_mask:0xf// 0000000070BC: 7E2002FA FF00B14B
	v_perm_b32 v51, v16, v75, v15                              // 0000000070C4: D1ED0033 043E9710
	v_mov_b32_dpp v16, v76 quad_perm:[1,0,3,2] row_mask:0xf bank_mask:0xf// 0000000070CC: 7E2002FA FF00B14C
	v_mfma_f32_16x16x16_f16 v[216:219], v[108:109], v[148:149], v[216:219]// 0000000070D4: D3CD00D8 0763296C
	v_perm_b32 v52, v16, v76, v15                              // 0000000070DC: D1ED0034 043E9910
	v_mov_b32_dpp v16, v77 quad_perm:[1,0,3,2] row_mask:0xf bank_mask:0xf// 0000000070E4: 7E2002FA FF00B14D
	v_perm_b32 v53, v16, v77, v15                              // 0000000070EC: D1ED0035 043E9B10
	v_mfma_f32_16x16x16_f16 v[220:223], v[110:111], v[148:149], v[220:223]// 0000000070F4: D3CD00DC 0773296E
	ds_write_b32 v18, v51 offset:20256                         // 0000000070FC: D81A4F20 00003312
	v_mfma_f32_16x16x16_f16 v[224:227], v[112:113], v[148:149], v[224:227]// 000000007104: D3CD00E0 07832970
	v_mfma_f32_16x16x16_f16 v[228:231], v[114:115], v[148:149], v[228:231]// 00000000710C: D3CD00E4 07932972
	ds_write_b32 v18, v52 offset:22016                         // 000000007114: D81A5600 00003412
	ds_write_b32 v18, v53 offset:22560                         // 00000000711C: D81A5820 00003512
	v_mfma_f32_16x16x16_f16 v[232:235], v[116:117], v[148:149], v[232:235]// 000000007124: D3CD00E8 07A32974
	v_mfma_f32_16x16x16_f16 v[236:239], v[118:119], v[148:149], v[236:239]// 00000000712C: D3CD00EC 07B32976
	ds_write_b32 v13, v84 offset:4352                          // 000000007134: D81A1100 0000540D
	ds_write_b32 v13, v85 offset:5408                          // 00000000713C: D81A1520 0000550D
	v_mfma_f32_16x16x16_f16 v[240:243], v[120:121], v[148:149], v[240:243]// 000000007144: D3CD00F0 07C32978
	s_nop 0                                                    // 00000000714C: BF800000
	s_nop 0                                                    // 000000007150: BF800000
	s_nop 0                                                    // 000000007154: BF800000
	v_mfma_f32_16x16x16_f16 v[244:247], v[122:123], v[148:149], v[244:247]// 000000007158: D3CD00F4 07D3297A
	ds_write_b32 v13, v86 offset:4480                          // 000000007160: D81A1180 0000560D
	ds_write_b32 v13, v87 offset:5536                          // 000000007168: D81A15A0 0000570D
	s_barrier                                                  // 000000007170: BF8A0000
	v_mfma_f32_16x16x16_f16 a[160:163], a[144:145], v[72:73], a[160:163]// 000000007174: D3CD80A0 0E829190
	buffer_atomic_add_f32 v136, v7, s[32:35], 0 offen          // 00000000717C: E1341000 80088807
	v_mfma_f32_16x16x16_f16 a[164:167], a[146:147], v[72:73], a[164:167]// 000000007184: D3CD80A4 0E929192
	ds_read_b32 v124, v21 offset:51200                         // 00000000718C: D86CC800 7C000015
	ds_read_b32 v150, v21 offset:51456                         // 000000007194: D86CC900 96000015
	v_mfma_f32_16x16x16_f16 a[168:171], a[148:149], v[72:73], a[168:171]// 00000000719C: D3CD80A8 0EA29194
	s_waitcnt lgkmcnt(6)                                       // 0000000071A4: BF8CC67F
	s_barrier                                                  // 0000000071A8: BF8A0000
	v_mfma_f32_16x16x16_f16 a[172:175], a[150:151], v[72:73], a[172:175]// 0000000071AC: D3CD80AC 0EB29196
	ds_read_b128 v[48:51], v17 offset:17408                    // 0000000071B4: D9FE4400 30000011
	v_mfma_f32_16x16x16_f16 a[176:179], a[152:153], v[72:73], a[176:179]// 0000000071BC: D3CD80B0 0EC29198
	v_mfma_f32_16x16x16_f16 a[180:183], a[154:155], v[72:73], a[180:183]// 0000000071C4: D3CD80B4 0ED2919A
	ds_read_b128 v[52:55], v17 offset:18560                    // 0000000071CC: D9FE4880 34000011
	v_mfma_f32_16x16x16_f16 a[184:187], a[156:157], v[72:73], a[184:187]// 0000000071D4: D3CD80B8 0EE2919C
	buffer_atomic_add_f32 v137, v8, s[32:35], 0 offen          // 0000000071DC: E1341000 80088908
	v_mfma_f32_16x16x16_f16 a[188:191], a[158:159], v[72:73], a[188:191]// 0000000071E4: D3CD80BC 0EF2919E
	ds_read_b128 v[56:59], v17 offset:19712                    // 0000000071EC: D9FE4D00 38000011
	v_mfma_f32_16x16x16_f16 a[192:195], a[144:145], v[74:75], a[192:195]// 0000000071F4: D3CD80C0 0F029590
	v_mfma_f32_16x16x16_f16 a[196:199], a[146:147], v[74:75], a[196:199]// 0000000071FC: D3CD80C4 0F129592
	ds_read_b128 v[60:63], v17 offset:20864                    // 000000007204: D9FE5180 3C000011
	v_mfma_f32_16x16x16_f16 a[200:203], a[148:149], v[74:75], a[200:203]// 00000000720C: D3CD80C8 0F229594
	v_mfma_f32_16x16x16_f16 a[204:207], a[150:151], v[74:75], a[204:207]// 000000007214: D3CD80CC 0F329596
	ds_read_b128 v[64:67], v17 offset:22016                    // 00000000721C: D9FE5600 40000011
	v_mfma_f32_16x16x16_f16 a[208:211], a[152:153], v[74:75], a[208:211]// 000000007224: D3CD80D0 0F429598
	buffer_atomic_add_f32 v138, v7, s[32:35], 0 offen offset:128// 00000000722C: E1341080 80088A07
	v_mfma_f32_16x16x16_f16 a[212:215], a[154:155], v[74:75], a[212:215]// 000000007234: D3CD80D4 0F52959A
	ds_read_b128 v[68:71], v17 offset:23168                    // 00000000723C: D9FE5A80 44000011
	v_mfma_f32_16x16x16_f16 a[216:219], a[156:157], v[74:75], a[216:219]// 000000007244: D3CD80D8 0F62959C
	v_mfma_f32_16x16x16_f16 a[220:223], a[158:159], v[74:75], a[220:223]// 00000000724C: D3CD80DC 0F72959E
	ds_write_b32 v13, v88 offset:13056                         // 000000007254: D81A3300 0000580D
	v_mfma_f32_16x16x16_f16 a[224:227], a[144:145], v[76:77], a[224:227]// 00000000725C: D3CD80E0 0F829990
	v_mfma_f32_16x16x16_f16 a[228:231], a[146:147], v[76:77], a[228:231]// 000000007264: D3CD80E4 0F929992
	ds_write_b32 v13, v89 offset:14112                         // 00000000726C: D81A3720 0000590D
	v_mfma_f32_16x16x16_f16 a[232:235], a[148:149], v[76:77], a[232:235]// 000000007274: D3CD80E8 0FA29994
	buffer_atomic_add_f32 v139, v8, s[32:35], 0 offen offset:128// 00000000727C: E1341080 80088B08
	v_mfma_f32_16x16x16_f16 a[236:239], a[150:151], v[76:77], a[236:239]// 000000007284: D3CD80EC 0FB29996
	ds_write_b32 v13, v90 offset:13184                         // 00000000728C: D81A3380 00005A0D
	v_mfma_f32_16x16x16_f16 a[240:243], a[152:153], v[76:77], a[240:243]// 000000007294: D3CD80F0 0FC29998
	v_mfma_f32_16x16x16_f16 a[244:247], a[154:155], v[76:77], a[244:247]// 00000000729C: D3CD80F4 0FD2999A
	ds_write_b32 v13, v91 offset:14240                         // 0000000072A4: D81A37A0 00005B0D
	v_mfma_f32_16x16x16_f16 a[248:251], a[156:157], v[76:77], a[248:251]// 0000000072AC: D3CD80F8 0FE2999C
	v_mfma_f32_16x16x16_f16 a[252:255], a[158:159], v[76:77], a[252:255]// 0000000072B4: D3CD80FC 0FF2999E
	s_waitcnt vmcnt(8) lgkmcnt(4)                              // 0000000072BC: BF8C0478
	s_barrier                                                  // 0000000072C0: BF8A0000
	v_mfma_f32_16x16x16_f16 v[128:131], v[48:49], a[48:49], 0  // 0000000072C4: D3CD0080 12026130
	v_cmp_eq_u32_e32 vcc, v124, v151                           // 0000000072CC: 7D952F7C
	v_mov_b32_e32 v28, 0                                       // 0000000072D0: 7E380280
	v_cndmask_b32_e32 v124, v124, v28, vcc                     // 0000000072D4: 00F8397C
	v_mul_f32_e32 v124, s48, v124                              // 0000000072D8: 0AF8F830
	s_nop 0                                                    // 0000000072DC: BF800000
	v_mfma_f32_16x16x16_f16 v[128:131], v[50:51], a[52:53], v[128:131]// 0000000072E0: D3CD0080 16026932
	ds_read_b128 a[144:147], v10                               // 0000000072E8: DBFE0000 9000000A
	v_mov_b32_e32 v36, 0                                       // 0000000072F0: 7E480280
	s_mov_b64 exec, s[86:87]                                   // 0000000072F4: BEFE0156
	buffer_load_dword v36, v1, s[8:11], 0 idxen                // 0000000072F8: E0502000 80022401
	s_mov_b64 exec, s[84:85]                                   // 000000007300: BEFE0154
	v_mfma_f32_16x16x16_f16 v[128:131], v[52:53], a[56:57], v[128:131]// 000000007304: D3CD0080 16027134
	v_mfma_f32_16x16x16_f16 v[128:131], v[54:55], a[60:61], v[128:131]// 00000000730C: D3CD0080 16027936
	ds_read_b128 a[148:151], v10 offset:512                    // 000000007314: DBFE0200 9400000A
	v_mov_b32_e32 v37, 0                                       // 00000000731C: 7E4A0280
	s_mov_b64 exec, s[86:87]                                   // 000000007320: BEFE0156
	buffer_load_dword v37, v2, s[8:11], 0 idxen                // 000000007324: E0502000 80022502
	s_mov_b64 exec, s[84:85]                                   // 00000000732C: BEFE0154
	v_mfma_f32_16x16x16_f16 v[128:131], v[56:57], a[64:65], v[128:131]// 000000007330: D3CD0080 16028138
	v_perm_b32 v84, v33, v32, s63                              // 000000007338: D1ED0054 00FE4121
	v_perm_b32 v85, v33, v32, s64                              // 000000007340: D1ED0055 01024121
	v_mfma_f32_16x16x16_f16 v[128:131], v[58:59], a[68:69], v[128:131]// 000000007348: D3CD0080 1602893A
	ds_read_b128 a[152:155], v10 offset:2176                   // 000000007350: DBFE0880 9800000A
	v_mov_b32_e32 v38, 0                                       // 000000007358: 7E4C0280
	s_mov_b64 exec, s[86:87]                                   // 00000000735C: BEFE0156
	buffer_load_dword v38, v3, s[8:11], 0 idxen                // 000000007360: E0502000 80022603
	s_mov_b64 exec, s[84:85]                                   // 000000007368: BEFE0154
	v_mfma_f32_16x16x16_f16 v[128:131], v[60:61], a[72:73], v[128:131]// 00000000736C: D3CD0080 1602913C
	v_perm_b32 v86, v35, v34, s63                              // 000000007374: D1ED0056 00FE4523
	v_perm_b32 v87, v35, v34, s64                              // 00000000737C: D1ED0057 01024523
	v_mfma_f32_16x16x16_f16 v[128:131], v[62:63], a[76:77], v[128:131]// 000000007384: D3CD0080 1602993E
	ds_read_b128 a[156:159], v10 offset:2688                   // 00000000738C: DBFE0A80 9C00000A
	v_mov_b32_e32 v39, 0                                       // 000000007394: 7E4E0280
	s_mov_b64 exec, s[86:87]                                   // 000000007398: BEFE0156
	buffer_load_dword v39, v4, s[8:11], 0 idxen                // 00000000739C: E0502000 80022704
	s_mov_b64 exec, s[84:85]                                   // 0000000073A4: BEFE0154
	v_mfma_f32_16x16x16_f16 v[128:131], v[64:65], a[80:81], v[128:131]// 0000000073A8: D3CD0080 1602A140
	v_perm_b32 v88, v41, v40, s63                              // 0000000073B0: D1ED0058 00FE5129
	v_perm_b32 v89, v41, v40, s64                              // 0000000073B8: D1ED0059 01025129
	v_mfma_f32_16x16x16_f16 v[128:131], v[66:67], a[84:85], v[128:131]// 0000000073C0: D3CD0080 1602A942
	ds_read_b128 v[92:95], v10 offset:8704                     // 0000000073C8: D9FE2200 5C00000A
	v_mov_b32_e32 v44, 0                                       // 0000000073D0: 7E580280
	s_mov_b64 exec, s[86:87]                                   // 0000000073D4: BEFE0156
	buffer_load_dword v44, v248, s[20:23], 0 idxen             // 0000000073D8: E0502000 80052CF8
	s_mov_b64 exec, s[84:85]                                   // 0000000073E0: BEFE0154
	v_mfma_f32_16x16x16_f16 v[128:131], v[68:69], a[88:89], v[128:131]// 0000000073E4: D3CD0080 1602B144
	v_perm_b32 v90, v43, v42, s63                              // 0000000073EC: D1ED005A 00FE552B
	v_perm_b32 v91, v43, v42, s64                              // 0000000073F4: D1ED005B 0102552B
	v_mfma_f32_16x16x16_f16 v[128:131], v[70:71], a[92:93], v[128:131]// 0000000073FC: D3CD0080 1602B946
	ds_read_b128 v[96:99], v10 offset:9216                     // 000000007404: D9FE2400 6000000A
	v_mov_b32_e32 v45, 0                                       // 00000000740C: 7E5A0280
	s_mov_b64 exec, s[86:87]                                   // 000000007410: BEFE0156
	buffer_load_dword v45, v249, s[20:23], 0 idxen             // 000000007414: E0502000 80052DF9
	s_mov_b64 exec, s[84:85]                                   // 00000000741C: BEFE0154
	v_mfma_f32_16x16x16_f16 v[132:135], v[48:49], a[50:51], 0  // 000000007420: D3CD0084 12026530
	v_mov_b32_dpp v127, v124 quad_perm:[3,3,3,3] row_mask:0xf bank_mask:0xf// 000000007428: 7EFE02FA FF00FF7C
	v_mov_b32_dpp v126, v124 quad_perm:[2,2,2,2] row_mask:0xf bank_mask:0xf// 000000007430: 7EFC02FA FF00AA7C
	v_mfma_f32_16x16x16_f16 v[132:135], v[50:51], a[54:55], v[132:135]// 000000007438: D3CD0084 16126D32
	ds_read_b128 v[100:103], v10 offset:10880                  // 000000007440: D9FE2A80 6400000A
	v_mov_b32_e32 v46, 0                                       // 000000007448: 7E5C0280
	s_mov_b64 exec, s[86:87]                                   // 00000000744C: BEFE0156
	buffer_load_dword v46, v250, s[20:23], 0 idxen             // 000000007450: E0502000 80052EFA
	s_mov_b64 exec, s[84:85]                                   // 000000007458: BEFE0154
	v_mfma_f32_16x16x16_f16 v[132:135], v[52:53], a[58:59], v[132:135]// 00000000745C: D3CD0084 16127534
	v_mov_b32_dpp v125, v124 quad_perm:[1,1,1,1] row_mask:0xf bank_mask:0xf// 000000007464: 7EFA02FA FF00557C
	v_mov_b32_dpp v124, v124 quad_perm:[0,0,0,0] row_mask:0xf bank_mask:0xf// 00000000746C: 7EF802FA FF00007C
	s_add_u32 s60, 64, s59                                     // 000000007474: 803C3BC0
	v_mfma_f32_16x16x16_f16 v[132:135], v[54:55], a[62:63], v[132:135]// 000000007478: D3CD0084 16127D36
	ds_read_b128 v[104:107], v10 offset:11392                  // 000000007480: D9FE2C80 6800000A
	v_mov_b32_e32 v47, 0                                       // 000000007488: 7E5E0280
	s_mov_b64 exec, s[86:87]                                   // 00000000748C: BEFE0156
	buffer_load_dword v47, v251, s[20:23], 0 idxen             // 000000007490: E0502000 80052FFB
	s_mov_b64 exec, s[84:85]                                   // 000000007498: BEFE0154
	v_mfma_f32_16x16x16_f16 v[132:135], v[56:57], a[66:67], v[132:135]// 00000000749C: D3CD0084 16128538
	s_cmp_lt_u32 s60, s58                                      // 0000000074A4: BF0A3A3C
	s_cselect_b32 s68, s68, 0                                  // 0000000074A8: 85448044
	s_cselect_b32 s95, s95, 0                                  // 0000000074AC: 855F805F
	s_cselect_b32 s69, s69, 0                                  // 0000000074B0: 85458045
	v_mfma_f32_16x16x16_f16 v[132:135], v[58:59], a[70:71], v[132:135]// 0000000074B4: D3CD0084 16128D3A
	buffer_load_dword v9, s[24:27], 0 idxen lds                // 0000000074BC: E0512000 80060009
	v_mfma_f32_16x16x16_f16 v[132:135], v[60:61], a[74:75], v[132:135]// 0000000074C4: D3CD0084 1612953C
	v_add_u32_e32 v1, s68, v1                                  // 0000000074CC: 68020244
	v_add_u32_e32 v2, s68, v2                                  // 0000000074D0: 68040444
	v_add_u32_e32 v3, s68, v3                                  // 0000000074D4: 68060644
	v_add_u32_e32 v4, s68, v4                                  // 0000000074D8: 68080844
	v_mfma_f32_16x16x16_f16 v[132:135], v[62:63], a[78:79], v[132:135]// 0000000074DC: D3CD0084 16129D3E
	v_add_u32_e32 v248, s95, v248                              // 0000000074E4: 69F1F05F
	v_add_u32_e32 v249, s95, v249                              // 0000000074E8: 69F3F25F
	v_add_u32_e32 v250, s95, v250                              // 0000000074EC: 69F5F45F
	v_add_u32_e32 v251, s95, v251                              // 0000000074F0: 69F7F65F
	v_mfma_f32_16x16x16_f16 v[132:135], v[64:65], a[82:83], v[132:135]// 0000000074F4: D3CD0084 1612A540
	s_mov_b32 m0, s74                                          // 0000000074FC: BEFC004A
	v_add_u32_e32 v9, s69, v9                                  // 000000007500: 68121245
	v_mfma_f32_16x16x16_f16 v[132:135], v[66:67], a[86:87], v[132:135]// 000000007504: D3CD0084 1612AD42
	s_cmp_ge_u32 s59, s99                                      // 00000000750C: BF09633B
	s_cselect_b32 s66, s67, s66                                // 000000007510: 85424243
	v_mfma_f32_16x16x16_f16 v[132:135], v[68:69], a[90:91], v[132:135]// 000000007514: D3CD0084 1612B544
	s_addk_i32 s59, 0x10                                       // 00000000751C: B73B0010
	s_nop 0                                                    // 000000007520: BF800000
	s_cmp_lt_i32 s59, s58                                      // 000000007524: BF043A3B
	v_mfma_f32_16x16x16_f16 v[132:135], v[70:71], a[94:95], v[132:135]// 000000007528: D3CD0084 1612BD46
	s_cbranch_scc0 label_11C3                                  // 000000007530: BF8403EA
	s_waitcnt lgkmcnt(0)                                       // 000000007534: BF8CC07F
	s_barrier                                                  // 000000007538: BF8A0000
	v_mfma_f32_16x16x16_f16 v[48:51], a[144:145], a[0:1], 0    // 00000000753C: D3CD0030 1A020190
	ds_write_b32 v11, v40 offset:8704                          // 000000007544: D81A2200 0000280B
	ds_write_b32 v11, v41 offset:9760                          // 00000000754C: D81A2620 0000290B
	v_mfma_f32_16x16x16_f16 v[48:51], a[146:147], a[2:3], v[48:51]// 000000007554: D3CD0030 1CC20592
	v_mul_f32_e32 v128, s47, v128                              // 00000000755C: 0B01002F
	v_mul_f32_e32 v129, s47, v129                              // 000000007560: 0B03022F
	v_mfma_f32_16x16x16_f16 v[48:51], a[148:149], a[4:5], v[48:51]// 000000007564: D3CD0030 1CC20994
	ds_write_b32 v11, v42 offset:8832                          // 00000000756C: D81A2280 00002A0B
	ds_write_b32 v11, v43 offset:9888                          // 000000007574: D81A26A0 00002B0B
	v_mfma_f32_16x16x16_f16 v[48:51], a[150:151], a[6:7], v[48:51]// 00000000757C: D3CD0030 1CC20D96
	v_mul_f32_e32 v130, s47, v130                              // 000000007584: 0B05042F
	v_mul_f32_e32 v131, s47, v131                              // 000000007588: 0B07062F
	v_mfma_f32_16x16x16_f16 v[48:51], a[152:153], a[8:9], v[48:51]// 00000000758C: D3CD0030 1CC21198
	ds_write_b64 v20, v[128:129] offset:24320                  // 000000007594: D89A5F00 00008014
	v_mfma_f32_16x16x16_f16 v[48:51], a[154:155], a[10:11], v[48:51]// 00000000759C: D3CD0030 1CC2159A
	v_mul_f32_e32 v132, s47, v132                              // 0000000075A4: 0B09082F
	v_mul_f32_e32 v133, s47, v133                              // 0000000075A8: 0B0B0A2F
	v_mfma_f32_16x16x16_f16 v[48:51], a[156:157], a[12:13], v[48:51]// 0000000075AC: D3CD0030 1CC2199C
	ds_write_b64 v20, v[130:131] offset:24832                  // 0000000075B4: D89A6100 00008214
	v_mfma_f32_16x16x16_f16 v[48:51], a[158:159], a[14:15], v[48:51]// 0000000075BC: D3CD0030 1CC21D9E
	v_mul_f32_e32 v134, s47, v134                              // 0000000075C4: 0B0D0C2F
	v_mul_f32_e32 v135, s47, v135                              // 0000000075C8: 0B0F0E2F
	v_mfma_f32_16x16x16_f16 v[52:55], a[144:145], a[16:17], 0  // 0000000075CC: D3CD0034 1A022190
	ds_write_b64 v20, v[132:133] offset:25344                  // 0000000075D4: D89A6300 00008414
	v_mfma_f32_16x16x16_f16 v[52:55], a[146:147], a[18:19], v[52:55]// 0000000075DC: D3CD0034 1CD22592
	buffer_atomic_add_f32 v140, v7, s[32:35], 0 offen offset:256// 0000000075E4: E1341100 80088C07
	v_mfma_f32_16x16x16_f16 v[52:55], a[148:149], a[20:21], v[52:55]// 0000000075EC: D3CD0034 1CD22994
	ds_write_b64 v20, v[134:135] offset:25856                  // 0000000075F4: D89A6500 00008614
	v_mfma_f32_16x16x16_f16 v[52:55], a[150:151], a[22:23], v[52:55]// 0000000075FC: D3CD0034 1CD22D96
	v_mfma_f32_16x16x16_f16 v[52:55], a[152:153], a[24:25], v[52:55]// 000000007604: D3CD0034 1CD23198
	ds_read_b128 v[108:111], v12 offset:13056                  // 00000000760C: D9FE3300 6C00000C
	ds_write_b32 v11, v32                                      // 000000007614: D81A0000 0000200B
	v_mfma_f32_16x16x16_f16 v[52:55], a[154:155], a[26:27], v[52:55]// 00000000761C: D3CD0034 1CD2359A
	buffer_atomic_add_f32 v141, v8, s[32:35], 0 offen offset:256// 000000007624: E1341100 80088D08
	v_mfma_f32_16x16x16_f16 v[52:55], a[156:157], a[28:29], v[52:55]// 00000000762C: D3CD0034 1CD2399C
	v_mfma_f32_16x16x16_f16 v[52:55], a[158:159], a[30:31], v[52:55]// 000000007634: D3CD0034 1CD23D9E
	ds_read_b128 v[112:115], v12 offset:13568                  // 00000000763C: D9FE3500 7000000C
	ds_write_b32 v11, v33 offset:1056                          // 000000007644: D81A0420 0000210B
	v_mfma_f32_16x16x16_f16 v[56:59], a[144:145], a[32:33], 0  // 00000000764C: D3CD0038 1A024190
	buffer_atomic_add_f32 v142, v7, s[32:35], 0 offen offset:384// 000000007654: E1341180 80088E07
	v_mfma_f32_16x16x16_f16 v[56:59], a[146:147], a[34:35], v[56:59]// 00000000765C: D3CD0038 1CE24592
	v_mfma_f32_16x16x16_f16 v[56:59], a[148:149], a[36:37], v[56:59]// 000000007664: D3CD0038 1CE24994
	ds_read_b128 v[116:119], v12 offset:15232                  // 00000000766C: D9FE3B80 7400000C
	ds_write_b32 v11, v34 offset:128                           // 000000007674: D81A0080 0000220B
	v_mfma_f32_16x16x16_f16 v[56:59], a[150:151], a[38:39], v[56:59]// 00000000767C: D3CD0038 1CE24D96
	v_mfma_f32_16x16x16_f16 v[56:59], a[152:153], a[40:41], v[56:59]// 000000007684: D3CD0038 1CE25198
	buffer_atomic_add_f32 v143, v8, s[32:35], 0 offen offset:384// 00000000768C: E1341180 80088F08
	v_mfma_f32_16x16x16_f16 v[56:59], a[154:155], a[42:43], v[56:59]// 000000007694: D3CD0038 1CE2559A
	ds_read_b128 v[120:123], v12 offset:15744                  // 00000000769C: D9FE3D80 7800000C
	ds_write_b32 v11, v35 offset:1184                          // 0000000076A4: D81A04A0 0000230B
	v_mfma_f32_16x16x16_f16 v[56:59], a[156:157], a[44:45], v[56:59]// 0000000076AC: D3CD0038 1CE2599C
	v_mfma_f32_16x16x16_f16 v[56:59], a[158:159], a[46:47], v[56:59]// 0000000076B4: D3CD0038 1CE25D9E
	s_add_i32 s82, s59, s97                                    // 0000000076BC: 8152613B
	s_sub_i32 s82, s82, 1                                      // 0000000076C0: 81D28152
	s_add_i32 s81, s59, 16                                     // 0000000076C4: 8151903B
	s_sub_i32 s81, s81, s98                                    // 0000000076C8: 81D16251
	s_add_i32 s81, s81, 1                                      // 0000000076CC: 81518151
	s_branch label_0E3B                                        // 0000000076D0: BF820000

00000000000076d4 <label_0E3B>:
	s_add_i32 s62, 0, s46                                      // 0000000076D4: 813E2E80
	s_mul_i32 s62, s62, 16                                     // 0000000076D8: 923E903E
	s_add_i32 s62, s80, s62                                    // 0000000076DC: 813E3E50
	s_add_i32 s61, s62, 16                                     // 0000000076E0: 813D903E
	s_add_i32 s61, s61, 16                                     // 0000000076E4: 813D903D
	s_cmp_lt_i32 s61, s81                                      // 0000000076E8: BF04513D
	s_cselect_b32 s60, 1, 0                                    // 0000000076EC: 853C8081
	s_sub_i32 s62, s62, 16                                     // 0000000076F0: 81BE903E
	s_cmp_gt_i32 s62, s82                                      // 0000000076F4: BF02523E
	s_cselect_b32 s61, 1, 0                                    // 0000000076F8: 853D8081
	s_or_b32 s60, s60, s61                                     // 0000000076FC: 873C3D3C
	s_cmp_eq_i32 s60, 1                                        // 000000007700: BF00813C
	s_cbranch_scc1 label_0ECE                                  // 000000007704: BF850085
	s_add_i32 s61, s62, 32                                     // 000000007708: 813DA03E
	s_add_i32 s62, s62, 16                                     // 00000000770C: 813E903E
	s_cmp_lt_i32 s62, s81                                      // 000000007710: BF04513E
	s_cselect_b32 s60, 1, 0                                    // 000000007714: 853C8081
	s_cmp_gt_i32 s61, s82                                      // 000000007718: BF02523D
	s_cselect_b32 s61, 1, 0                                    // 00000000771C: 853D8081
	s_or_b32 s60, s60, s61                                     // 000000007720: 873C3D3C
	s_cmp_eq_i32 s60, 1                                        // 000000007724: BF00813C
	s_cbranch_scc1 label_0E81                                  // 000000007728: BF85002F
	s_branch label_0E52                                        // 00000000772C: BF820000

0000000000007730 <label_0E52>:
	s_add_i32 s62, 4, s46                                      // 000000007730: 813E2E84
	s_mul_i32 s62, s62, 16                                     // 000000007734: 923E903E
	s_add_i32 s62, s80, s62                                    // 000000007738: 813E3E50
	s_add_i32 s61, s62, 16                                     // 00000000773C: 813D903E
	s_add_i32 s61, s61, 16                                     // 000000007740: 813D903D
	s_cmp_lt_i32 s61, s81                                      // 000000007744: BF04513D
	s_cselect_b32 s60, 1, 0                                    // 000000007748: 853C8081
	s_sub_i32 s62, s62, 16                                     // 00000000774C: 81BE903E
	s_cmp_gt_i32 s62, s82                                      // 000000007750: BF02523E
	s_cselect_b32 s61, 1, 0                                    // 000000007754: 853D8081
	s_or_b32 s60, s60, s61                                     // 000000007758: 873C3D3C
	s_cmp_eq_i32 s60, 1                                        // 00000000775C: BF00813C
	s_cbranch_scc1 label_0F20                                  // 000000007760: BF8500C0
	s_add_i32 s61, s62, 32                                     // 000000007764: 813DA03E
	s_add_i32 s62, s62, 16                                     // 000000007768: 813E903E
	s_cmp_lt_i32 s62, s81                                      // 00000000776C: BF04513E
	s_cselect_b32 s60, 1, 0                                    // 000000007770: 853C8081
	s_cmp_gt_i32 s61, s82                                      // 000000007774: BF02523D
	s_cselect_b32 s61, 1, 0                                    // 000000007778: 853D8081
	s_or_b32 s60, s60, s61                                     // 00000000777C: 873C3D3C
	s_cmp_eq_i32 s60, 1                                        // 000000007780: BF00813C
	s_cbranch_scc1 label_0ED3                                  // 000000007784: BF85006A
	s_branch label_0E69                                        // 000000007788: BF820000

000000000000778c <label_0E69>:
	s_add_i32 s62, 8, s46                                      // 00000000778C: 813E2E88
	s_mul_i32 s62, s62, 16                                     // 000000007790: 923E903E
	s_add_i32 s62, s80, s62                                    // 000000007794: 813E3E50
	s_add_i32 s61, s62, 16                                     // 000000007798: 813D903E
	s_add_i32 s61, s61, 16                                     // 00000000779C: 813D903D
	s_cmp_lt_i32 s61, s81                                      // 0000000077A0: BF04513D
	s_cselect_b32 s60, 1, 0                                    // 0000000077A4: 853C8081
	s_sub_i32 s62, s62, 16                                     // 0000000077A8: 81BE903E
	s_cmp_gt_i32 s62, s82                                      // 0000000077AC: BF02523E
	s_cselect_b32 s61, 1, 0                                    // 0000000077B0: 853D8081
	s_or_b32 s60, s60, s61                                     // 0000000077B4: 873C3D3C
	s_cmp_eq_i32 s60, 1                                        // 0000000077B8: BF00813C
	s_cbranch_scc1 label_0F72                                  // 0000000077BC: BF8500FB
	s_add_i32 s61, s62, 32                                     // 0000000077C0: 813DA03E
	s_add_i32 s62, s62, 16                                     // 0000000077C4: 813E903E
	s_cmp_lt_i32 s62, s81                                      // 0000000077C8: BF04513E
	s_cselect_b32 s60, 1, 0                                    // 0000000077CC: 853C8081
	s_cmp_gt_i32 s61, s82                                      // 0000000077D0: BF02523D
	s_cselect_b32 s61, 1, 0                                    // 0000000077D4: 853D8081
	s_or_b32 s60, s60, s61                                     // 0000000077D8: 873C3D3C
	s_cmp_eq_i32 s60, 1                                        // 0000000077DC: BF00813C
	s_cbranch_scc1 label_0F25                                  // 0000000077E0: BF8500A5
	s_branch label_0F77                                        // 0000000077E4: BF8200F6

00000000000077e8 <label_0E81>:
	v_and_b32_e32 v28, 15, v0                                  // 0000000077E8: 2638008F
	v_add_u32_e32 v28, s62, v28                                // 0000000077EC: 6838383E
	v_lshrrev_b32_e32 v29, 4, v0                               // 0000000077F0: 203A0084
	v_lshlrev_b32_e32 v29, 2, v29                              // 0000000077F4: 243A3A82
	v_add_i32 v29, 0, v29                                      // 0000000077F8: D29C001D 00023A80
	v_add_i32 v29, s59, v29                                    // 000000007800: D29C001D 00023A3B
	v_sub_i32 v29, v29, v28                                    // 000000007808: D29D001D 0002391D
	v_cmp_ge_i32_e64 vcc, v29, s98                             // 000000007810: D0C6006A 0000C51D
	v_sub_i32 v29, 0, v29                                      // 000000007818: D29D001D 00023A80
	v_cndmask_b32_e32 v48, v48, v151, vcc                      // 000000007820: 00612F30
	v_cmp_ge_i32_e64 vcc, v29, s97                             // 000000007824: D0C6006A 0000C31D
	s_nop 1                                                    // 00000000782C: BF800001
	v_cndmask_b32_e32 v48, v48, v151, vcc                      // 000000007830: 00612F30
	v_and_b32_e32 v28, 15, v0                                  // 000000007834: 2638008F
	v_add_u32_e32 v28, s62, v28                                // 000000007838: 6838383E
	v_lshrrev_b32_e32 v29, 4, v0                               // 00000000783C: 203A0084
	v_lshlrev_b32_e32 v29, 2, v29                              // 000000007840: 243A3A82
	v_add_i32 v29, 1, v29                                      // 000000007844: D29C001D 00023A81
	v_add_i32 v29, s59, v29                                    // 00000000784C: D29C001D 00023A3B
	v_sub_i32 v29, v29, v28                                    // 000000007854: D29D001D 0002391D
	v_cmp_ge_i32_e64 vcc, v29, s98                             // 00000000785C: D0C6006A 0000C51D
	v_sub_i32 v29, 0, v29                                      // 000000007864: D29D001D 00023A80
	v_cndmask_b32_e32 v49, v49, v151, vcc                      // 00000000786C: 00632F31
	v_cmp_ge_i32_e64 vcc, v29, s97                             // 000000007870: D0C6006A 0000C31D
	s_nop 1                                                    // 000000007878: BF800001
	v_cndmask_b32_e32 v49, v49, v151, vcc                      // 00000000787C: 00632F31
	v_and_b32_e32 v28, 15, v0                                  // 000000007880: 2638008F
	v_add_u32_e32 v28, s62, v28                                // 000000007884: 6838383E
	v_lshrrev_b32_e32 v29, 4, v0                               // 000000007888: 203A0084
	v_lshlrev_b32_e32 v29, 2, v29                              // 00000000788C: 243A3A82
	v_add_i32 v29, 2, v29                                      // 000000007890: D29C001D 00023A82
	v_add_i32 v29, s59, v29                                    // 000000007898: D29C001D 00023A3B
	v_sub_i32 v29, v29, v28                                    // 0000000078A0: D29D001D 0002391D
	v_cmp_ge_i32_e64 vcc, v29, s98                             // 0000000078A8: D0C6006A 0000C51D
	v_sub_i32 v29, 0, v29                                      // 0000000078B0: D29D001D 00023A80
	v_cndmask_b32_e32 v50, v50, v151, vcc                      // 0000000078B8: 00652F32
	v_cmp_ge_i32_e64 vcc, v29, s97                             // 0000000078BC: D0C6006A 0000C31D
	s_nop 1                                                    // 0000000078C4: BF800001
	v_cndmask_b32_e32 v50, v50, v151, vcc                      // 0000000078C8: 00652F32
	v_and_b32_e32 v28, 15, v0                                  // 0000000078CC: 2638008F
	v_add_u32_e32 v28, s62, v28                                // 0000000078D0: 6838383E
	v_lshrrev_b32_e32 v29, 4, v0                               // 0000000078D4: 203A0084
	v_lshlrev_b32_e32 v29, 2, v29                              // 0000000078D8: 243A3A82
	v_add_i32 v29, 3, v29                                      // 0000000078DC: D29C001D 00023A83
	v_add_i32 v29, s59, v29                                    // 0000000078E4: D29C001D 00023A3B
	v_sub_i32 v29, v29, v28                                    // 0000000078EC: D29D001D 0002391D
	v_cmp_ge_i32_e64 vcc, v29, s98                             // 0000000078F4: D0C6006A 0000C51D
	v_sub_i32 v29, 0, v29                                      // 0000000078FC: D29D001D 00023A80
	v_cndmask_b32_e32 v51, v51, v151, vcc                      // 000000007904: 00672F33
	v_cmp_ge_i32_e64 vcc, v29, s97                             // 000000007908: D0C6006A 0000C31D
	s_nop 1                                                    // 000000007910: BF800001
	v_cndmask_b32_e32 v51, v51, v151, vcc                      // 000000007914: 00672F33
	s_branch label_0E52                                        // 000000007918: BF82FF85

000000000000791c <label_0ECE>:
	v_mov_b32_e32 v48, v151                                    // 00000000791C: 7E600397
	v_mov_b32_e32 v49, v151                                    // 000000007920: 7E620397
	v_mov_b32_e32 v50, v151                                    // 000000007924: 7E640397
	v_mov_b32_e32 v51, v151                                    // 000000007928: 7E660397
	s_branch label_0E52                                        // 00000000792C: BF82FF80

0000000000007930 <label_0ED3>:
	v_and_b32_e32 v28, 15, v0                                  // 000000007930: 2638008F
	v_add_u32_e32 v28, s62, v28                                // 000000007934: 6838383E
	v_lshrrev_b32_e32 v29, 4, v0                               // 000000007938: 203A0084
	v_lshlrev_b32_e32 v29, 2, v29                              // 00000000793C: 243A3A82
	v_add_i32 v29, 0, v29                                      // 000000007940: D29C001D 00023A80
	v_add_i32 v29, s59, v29                                    // 000000007948: D29C001D 00023A3B
	v_sub_i32 v29, v29, v28                                    // 000000007950: D29D001D 0002391D
	v_cmp_ge_i32_e64 vcc, v29, s98                             // 000000007958: D0C6006A 0000C51D
	v_sub_i32 v29, 0, v29                                      // 000000007960: D29D001D 00023A80
	v_cndmask_b32_e32 v52, v52, v151, vcc                      // 000000007968: 00692F34
	v_cmp_ge_i32_e64 vcc, v29, s97                             // 00000000796C: D0C6006A 0000C31D
	s_nop 1                                                    // 000000007974: BF800001
	v_cndmask_b32_e32 v52, v52, v151, vcc                      // 000000007978: 00692F34
	v_and_b32_e32 v28, 15, v0                                  // 00000000797C: 2638008F
	v_add_u32_e32 v28, s62, v28                                // 000000007980: 6838383E
	v_lshrrev_b32_e32 v29, 4, v0                               // 000000007984: 203A0084
	v_lshlrev_b32_e32 v29, 2, v29                              // 000000007988: 243A3A82
	v_add_i32 v29, 1, v29                                      // 00000000798C: D29C001D 00023A81
	v_add_i32 v29, s59, v29                                    // 000000007994: D29C001D 00023A3B
	v_sub_i32 v29, v29, v28                                    // 00000000799C: D29D001D 0002391D
	v_cmp_ge_i32_e64 vcc, v29, s98                             // 0000000079A4: D0C6006A 0000C51D
	v_sub_i32 v29, 0, v29                                      // 0000000079AC: D29D001D 00023A80
	v_cndmask_b32_e32 v53, v53, v151, vcc                      // 0000000079B4: 006B2F35
	v_cmp_ge_i32_e64 vcc, v29, s97                             // 0000000079B8: D0C6006A 0000C31D
	s_nop 1                                                    // 0000000079C0: BF800001
	v_cndmask_b32_e32 v53, v53, v151, vcc                      // 0000000079C4: 006B2F35
	v_and_b32_e32 v28, 15, v0                                  // 0000000079C8: 2638008F
	v_add_u32_e32 v28, s62, v28                                // 0000000079CC: 6838383E
	v_lshrrev_b32_e32 v29, 4, v0                               // 0000000079D0: 203A0084
	v_lshlrev_b32_e32 v29, 2, v29                              // 0000000079D4: 243A3A82
	v_add_i32 v29, 2, v29                                      // 0000000079D8: D29C001D 00023A82
	v_add_i32 v29, s59, v29                                    // 0000000079E0: D29C001D 00023A3B
	v_sub_i32 v29, v29, v28                                    // 0000000079E8: D29D001D 0002391D
	v_cmp_ge_i32_e64 vcc, v29, s98                             // 0000000079F0: D0C6006A 0000C51D
	v_sub_i32 v29, 0, v29                                      // 0000000079F8: D29D001D 00023A80
	v_cndmask_b32_e32 v54, v54, v151, vcc                      // 000000007A00: 006D2F36
	v_cmp_ge_i32_e64 vcc, v29, s97                             // 000000007A04: D0C6006A 0000C31D
	s_nop 1                                                    // 000000007A0C: BF800001
	v_cndmask_b32_e32 v54, v54, v151, vcc                      // 000000007A10: 006D2F36
	v_and_b32_e32 v28, 15, v0                                  // 000000007A14: 2638008F
	v_add_u32_e32 v28, s62, v28                                // 000000007A18: 6838383E
	v_lshrrev_b32_e32 v29, 4, v0                               // 000000007A1C: 203A0084
	v_lshlrev_b32_e32 v29, 2, v29                              // 000000007A20: 243A3A82
	v_add_i32 v29, 3, v29                                      // 000000007A24: D29C001D 00023A83
	v_add_i32 v29, s59, v29                                    // 000000007A2C: D29C001D 00023A3B
	v_sub_i32 v29, v29, v28                                    // 000000007A34: D29D001D 0002391D
	v_cmp_ge_i32_e64 vcc, v29, s98                             // 000000007A3C: D0C6006A 0000C51D
	v_sub_i32 v29, 0, v29                                      // 000000007A44: D29D001D 00023A80
	v_cndmask_b32_e32 v55, v55, v151, vcc                      // 000000007A4C: 006F2F37
	v_cmp_ge_i32_e64 vcc, v29, s97                             // 000000007A50: D0C6006A 0000C31D
	s_nop 1                                                    // 000000007A58: BF800001
	v_cndmask_b32_e32 v55, v55, v151, vcc                      // 000000007A5C: 006F2F37
	s_branch label_0E69                                        // 000000007A60: BF82FF4A

0000000000007a64 <label_0F20>:
	v_mov_b32_e32 v52, v151                                    // 000000007A64: 7E680397
	v_mov_b32_e32 v53, v151                                    // 000000007A68: 7E6A0397
	v_mov_b32_e32 v54, v151                                    // 000000007A6C: 7E6C0397
	v_mov_b32_e32 v55, v151                                    // 000000007A70: 7E6E0397
	s_branch label_0E69                                        // 000000007A74: BF82FF45

0000000000007a78 <label_0F25>:
	v_and_b32_e32 v28, 15, v0                                  // 000000007A78: 2638008F
	v_add_u32_e32 v28, s62, v28                                // 000000007A7C: 6838383E
	v_lshrrev_b32_e32 v29, 4, v0                               // 000000007A80: 203A0084
	v_lshlrev_b32_e32 v29, 2, v29                              // 000000007A84: 243A3A82
	v_add_i32 v29, 0, v29                                      // 000000007A88: D29C001D 00023A80
	v_add_i32 v29, s59, v29                                    // 000000007A90: D29C001D 00023A3B
	v_sub_i32 v29, v29, v28                                    // 000000007A98: D29D001D 0002391D
	v_cmp_ge_i32_e64 vcc, v29, s98                             // 000000007AA0: D0C6006A 0000C51D
	v_sub_i32 v29, 0, v29                                      // 000000007AA8: D29D001D 00023A80
	v_cndmask_b32_e32 v56, v56, v151, vcc                      // 000000007AB0: 00712F38
	v_cmp_ge_i32_e64 vcc, v29, s97                             // 000000007AB4: D0C6006A 0000C31D
	s_nop 1                                                    // 000000007ABC: BF800001
	v_cndmask_b32_e32 v56, v56, v151, vcc                      // 000000007AC0: 00712F38
	v_and_b32_e32 v28, 15, v0                                  // 000000007AC4: 2638008F
	v_add_u32_e32 v28, s62, v28                                // 000000007AC8: 6838383E
	v_lshrrev_b32_e32 v29, 4, v0                               // 000000007ACC: 203A0084
	v_lshlrev_b32_e32 v29, 2, v29                              // 000000007AD0: 243A3A82
	v_add_i32 v29, 1, v29                                      // 000000007AD4: D29C001D 00023A81
	v_add_i32 v29, s59, v29                                    // 000000007ADC: D29C001D 00023A3B
	v_sub_i32 v29, v29, v28                                    // 000000007AE4: D29D001D 0002391D
	v_cmp_ge_i32_e64 vcc, v29, s98                             // 000000007AEC: D0C6006A 0000C51D
	v_sub_i32 v29, 0, v29                                      // 000000007AF4: D29D001D 00023A80
	v_cndmask_b32_e32 v57, v57, v151, vcc                      // 000000007AFC: 00732F39
	v_cmp_ge_i32_e64 vcc, v29, s97                             // 000000007B00: D0C6006A 0000C31D
	s_nop 1                                                    // 000000007B08: BF800001
	v_cndmask_b32_e32 v57, v57, v151, vcc                      // 000000007B0C: 00732F39
	v_and_b32_e32 v28, 15, v0                                  // 000000007B10: 2638008F
	v_add_u32_e32 v28, s62, v28                                // 000000007B14: 6838383E
	v_lshrrev_b32_e32 v29, 4, v0                               // 000000007B18: 203A0084
	v_lshlrev_b32_e32 v29, 2, v29                              // 000000007B1C: 243A3A82
	v_add_i32 v29, 2, v29                                      // 000000007B20: D29C001D 00023A82
	v_add_i32 v29, s59, v29                                    // 000000007B28: D29C001D 00023A3B
	v_sub_i32 v29, v29, v28                                    // 000000007B30: D29D001D 0002391D
	v_cmp_ge_i32_e64 vcc, v29, s98                             // 000000007B38: D0C6006A 0000C51D
	v_sub_i32 v29, 0, v29                                      // 000000007B40: D29D001D 00023A80
	v_cndmask_b32_e32 v58, v58, v151, vcc                      // 000000007B48: 00752F3A
	v_cmp_ge_i32_e64 vcc, v29, s97                             // 000000007B4C: D0C6006A 0000C31D
	s_nop 1                                                    // 000000007B54: BF800001
	v_cndmask_b32_e32 v58, v58, v151, vcc                      // 000000007B58: 00752F3A
	v_and_b32_e32 v28, 15, v0                                  // 000000007B5C: 2638008F
	v_add_u32_e32 v28, s62, v28                                // 000000007B60: 6838383E
	v_lshrrev_b32_e32 v29, 4, v0                               // 000000007B64: 203A0084
	v_lshlrev_b32_e32 v29, 2, v29                              // 000000007B68: 243A3A82
	v_add_i32 v29, 3, v29                                      // 000000007B6C: D29C001D 00023A83
	v_add_i32 v29, s59, v29                                    // 000000007B74: D29C001D 00023A3B
	v_sub_i32 v29, v29, v28                                    // 000000007B7C: D29D001D 0002391D
	v_cmp_ge_i32_e64 vcc, v29, s98                             // 000000007B84: D0C6006A 0000C51D
	v_sub_i32 v29, 0, v29                                      // 000000007B8C: D29D001D 00023A80
	v_cndmask_b32_e32 v59, v59, v151, vcc                      // 000000007B94: 00772F3B
	v_cmp_ge_i32_e64 vcc, v29, s97                             // 000000007B98: D0C6006A 0000C31D
	s_nop 1                                                    // 000000007BA0: BF800001
	v_cndmask_b32_e32 v59, v59, v151, vcc                      // 000000007BA4: 00772F3B
	s_branch label_0F77                                        // 000000007BA8: BF820005

0000000000007bac <label_0F72>:
	v_mov_b32_e32 v56, v151                                    // 000000007BAC: 7E700397
	v_mov_b32_e32 v57, v151                                    // 000000007BB0: 7E720397
	v_mov_b32_e32 v58, v151                                    // 000000007BB4: 7E740397
	v_mov_b32_e32 v59, v151                                    // 000000007BB8: 7E760397
	s_branch label_0F77                                        // 000000007BBC: BF820000

0000000000007bc0 <label_0F77>:
	s_cmp_lt_i32 s100, 0xc0                                    // 000000007BC0: BF04FF64 000000C0
	s_cbranch_scc0 label_0FCC                                  // 000000007BC8: BF84004D
	s_cmp_le_i32 s100, 64                                      // 000000007BCC: BF05C064
	s_cbranch_scc1 label_0F83                                  // 000000007BD0: BF850007
	s_cmp_le_i32 s100, 0x80                                    // 000000007BD4: BF05FF64 00000080
	s_cbranch_scc1 label_0F9B                                  // 000000007BDC: BF850017
	s_cmp_lt_i32 s100, 0xc0                                    // 000000007BE0: BF04FF64 000000C0
	s_cbranch_scc1 label_0FB3                                  // 000000007BE8: BF85002C
	s_branch label_0FCC                                        // 000000007BEC: BF820044

0000000000007bf0 <label_0F83>:
	s_mov_b32 s60, 0                                           // 000000007BF0: BEBC0080
	v_and_b32_e32 v28, 15, v0                                  // 000000007BF4: 2638008F
	v_add_u32_e64 v28, v28, s60                                // 000000007BF8: D134001C 0000791C
	v_mul_i32_i24_e64 v29, s46, 16                             // 000000007C00: D106001D 0001202E
	v_add_u32_e32 v28, v28, v29                                // 000000007C08: 68383B1C
	v_cmp_lt_u32_e64 s[60:61], v28, s100                       // 000000007C0C: D0C9003C 0000C91C
	s_nop 1                                                    // 000000007C14: BF800001
	v_cndmask_b32_e64 v48, v151, v48, s[60:61]                 // 000000007C18: D1000030 00F26197
	v_cndmask_b32_e64 v49, v151, v49, s[60:61]                 // 000000007C20: D1000031 00F26397
	v_cndmask_b32_e64 v50, v151, v50, s[60:61]                 // 000000007C28: D1000032 00F26597
	v_cndmask_b32_e64 v51, v151, v51, s[60:61]                 // 000000007C30: D1000033 00F26797
	s_branch label_0FAE                                        // 000000007C38: BF820013

0000000000007c3c <label_0F9B>:
	s_mov_b32 s60, 64                                          // 000000007C3C: BEBC00C0
	v_and_b32_e32 v28, 15, v0                                  // 000000007C40: 2638008F
	v_add_u32_e64 v28, v28, s60                                // 000000007C44: D134001C 0000791C
	v_mul_i32_i24_e64 v29, s46, 16                             // 000000007C4C: D106001D 0001202E
	v_add_u32_e32 v28, v28, v29                                // 000000007C54: 68383B1C
	v_cmp_lt_u32_e64 s[60:61], v28, s100                       // 000000007C58: D0C9003C 0000C91C
	s_nop 1                                                    // 000000007C60: BF800001
	v_cndmask_b32_e64 v52, v151, v52, s[60:61]                 // 000000007C64: D1000034 00F26997
	v_cndmask_b32_e64 v53, v151, v53, s[60:61]                 // 000000007C6C: D1000035 00F26B97
	v_cndmask_b32_e64 v54, v151, v54, s[60:61]                 // 000000007C74: D1000036 00F26D97
	v_cndmask_b32_e64 v55, v151, v55, s[60:61]                 // 000000007C7C: D1000037 00F26F97
	s_branch label_0FC7                                        // 000000007C84: BF820019

0000000000007c88 <label_0FAE>:
	v_mov_b32_e32 v52, v151                                    // 000000007C88: 7E680397
	v_mov_b32_e32 v53, v151                                    // 000000007C8C: 7E6A0397
	v_mov_b32_e32 v54, v151                                    // 000000007C90: 7E6C0397
	v_mov_b32_e32 v55, v151                                    // 000000007C94: 7E6E0397
	s_branch label_0FC7                                        // 000000007C98: BF820014

0000000000007c9c <label_0FB3>:
	s_mov_b32 s60, 0x80                                        // 000000007C9C: BEBC00FF 00000080
	v_and_b32_e32 v28, 15, v0                                  // 000000007CA4: 2638008F
	v_add_u32_e64 v28, v28, s60                                // 000000007CA8: D134001C 0000791C
	v_mul_i32_i24_e64 v29, s46, 16                             // 000000007CB0: D106001D 0001202E
	v_add_u32_e32 v28, v28, v29                                // 000000007CB8: 68383B1C
	v_cmp_lt_u32_e64 s[60:61], v28, s100                       // 000000007CBC: D0C9003C 0000C91C
	s_nop 1                                                    // 000000007CC4: BF800001
	v_cndmask_b32_e64 v56, v151, v56, s[60:61]                 // 000000007CC8: D1000038 00F27197
	v_cndmask_b32_e64 v57, v151, v57, s[60:61]                 // 000000007CD0: D1000039 00F27397
	v_cndmask_b32_e64 v58, v151, v58, s[60:61]                 // 000000007CD8: D100003A 00F27597
	v_cndmask_b32_e64 v59, v151, v59, s[60:61]                 // 000000007CE0: D100003B 00F27797
	s_branch label_0FCC                                        // 000000007CE8: BF820005

0000000000007cec <label_0FC7>:
	v_mov_b32_e32 v56, v151                                    // 000000007CEC: 7E700397
	v_mov_b32_e32 v57, v151                                    // 000000007CF0: 7E720397
	v_mov_b32_e32 v58, v151                                    // 000000007CF4: 7E740397
	v_mov_b32_e32 v59, v151                                    // 000000007CF8: 7E760397
	s_branch label_0FCC                                        // 000000007CFC: BF820000

0000000000007d00 <label_0FCC>:
	s_waitcnt lgkmcnt(8)                                       // 000000007D00: BF8CC87F
	s_barrier                                                  // 000000007D04: BF8A0000
	v_mfma_f32_16x16x16_f16 v[72:75], v[92:93], a[96:97], 0    // 000000007D08: D3CD0048 1202C15C
	ds_read_b128 a[144:147], v12 offset:4352                   // 000000007D10: DBFE1100 9000000C
	ds_read_b128 a[148:151], v12 offset:4864                   // 000000007D18: DBFE1300 9400000C
	v_mfma_f32_16x16x16_f16 v[72:75], v[94:95], a[98:99], v[72:75]// 000000007D20: D3CD0048 1522C55E
	v_fma_f32 v48, v48, s57, -v124                             // 000000007D28: D1CB0030 85F07330
	v_fma_f32 v49, v49, s57, -v125                             // 000000007D30: D1CB0031 85F47331
	v_fma_f32 v50, v50, s57, -v126                             // 000000007D38: D1CB0032 85F87332
	v_mfma_f32_16x16x16_f16 v[72:75], v[96:97], a[100:101], v[72:75]// 000000007D40: D3CD0048 1522C960
	v_fma_f32 v51, v51, s57, -v127                             // 000000007D48: D1CB0033 85FC7333
	v_fma_f32 v52, v52, s57, -v124                             // 000000007D50: D1CB0034 85F07334
	v_fma_f32 v53, v53, s57, -v125                             // 000000007D58: D1CB0035 85F47335
	v_mfma_f32_16x16x16_f16 v[72:75], v[98:99], a[102:103], v[72:75]// 000000007D60: D3CD0048 1522CD62
	v_fma_f32 v54, v54, s57, -v126                             // 000000007D68: D1CB0036 85F87336
	v_fma_f32 v55, v55, s57, -v127                             // 000000007D70: D1CB0037 85FC7337
	v_fma_f32 v56, v56, s57, -v124                             // 000000007D78: D1CB0038 85F07338
	v_mfma_f32_16x16x16_f16 v[72:75], v[100:101], a[104:105], v[72:75]// 000000007D80: D3CD0048 1522D164
	ds_read_b128 a[152:155], v12 offset:6528                   // 000000007D88: DBFE1980 9800000C
	ds_read_b128 a[156:159], v12 offset:7040                   // 000000007D90: DBFE1B80 9C00000C
	v_mfma_f32_16x16x16_f16 v[72:75], v[102:103], a[106:107], v[72:75]// 000000007D98: D3CD0048 1522D566
	v_fma_f32 v57, v57, s57, -v125                             // 000000007DA0: D1CB0039 85F47339
	v_fma_f32 v58, v58, s57, -v126                             // 000000007DA8: D1CB003A 85F8733A
	v_fma_f32 v59, v59, s57, -v127                             // 000000007DB0: D1CB003B 85FC733B
	v_mfma_f32_16x16x16_f16 v[72:75], v[104:105], a[108:109], v[72:75]// 000000007DB8: D3CD0048 1522D968
	v_exp_f32_e32 v48, v48                                     // 000000007DC0: 7E604130
	v_mfma_f32_16x16x16_f16 v[72:75], v[106:107], a[110:111], v[72:75]// 000000007DC4: D3CD0048 1522DD6A
	v_exp_f32_e32 v49, v49                                     // 000000007DCC: 7E624131
	v_mfma_f32_16x16x16_f16 v[76:79], v[92:93], a[112:113], 0  // 000000007DD0: D3CD004C 1202E15C
	ds_read_b64 v[136:137], v19 offset:24320                   // 000000007DD8: D8EC5F00 88000013
	ds_read_b64 v[138:139], v19 offset:26368                   // 000000007DE0: D8EC6700 8A000013
	v_mfma_f32_16x16x16_f16 v[76:79], v[94:95], a[114:115], v[76:79]// 000000007DE8: D3CD004C 1532E55E
	v_exp_f32_e32 v50, v50                                     // 000000007DF0: 7E644132
	v_mfma_f32_16x16x16_f16 v[76:79], v[96:97], a[116:117], v[76:79]// 000000007DF4: D3CD004C 1532E960
	ds_read_b64 v[140:141], v19 offset:28416                   // 000000007DFC: D8EC6F00 8C000013
	ds_read_b64 v[142:143], v19 offset:30464                   // 000000007E04: D8EC7700 8E000013
	v_mfma_f32_16x16x16_f16 v[76:79], v[98:99], a[118:119], v[76:79]// 000000007E0C: D3CD004C 1532ED62
	v_exp_f32_e32 v51, v51                                     // 000000007E14: 7E664133
	v_mfma_f32_16x16x16_f16 v[76:79], v[100:101], a[120:121], v[76:79]// 000000007E18: D3CD004C 1532F164
	v_exp_f32_e32 v52, v52                                     // 000000007E20: 7E684134
	v_mfma_f32_16x16x16_f16 v[76:79], v[102:103], a[122:123], v[76:79]// 000000007E24: D3CD004C 1532F566
	v_exp_f32_e32 v53, v53                                     // 000000007E2C: 7E6A4135
	v_mfma_f32_16x16x16_f16 v[76:79], v[104:105], a[124:125], v[76:79]// 000000007E30: D3CD004C 1532F968
	v_exp_f32_e32 v54, v54                                     // 000000007E38: 7E6C4136
	v_mfma_f32_16x16x16_f16 v[76:79], v[106:107], a[126:127], v[76:79]// 000000007E3C: D3CD004C 1532FD6A
	v_exp_f32_e32 v55, v55                                     // 000000007E44: 7E6E4137
	v_mfma_f32_16x16x16_f16 v[80:83], v[92:93], a[128:129], 0  // 000000007E48: D3CD0050 1203015C
	v_exp_f32_e32 v56, v56                                     // 000000007E50: 7E704138
	v_mfma_f32_16x16x16_f16 v[80:83], v[94:95], a[130:131], v[80:83]// 000000007E54: D3CD0050 1543055E
	v_exp_f32_e32 v57, v57                                     // 000000007E5C: 7E724139
	v_mfma_f32_16x16x16_f16 v[80:83], v[96:97], a[132:133], v[80:83]// 000000007E60: D3CD0050 15430960
	v_exp_f32_e32 v58, v58                                     // 000000007E68: 7E74413A
	v_mfma_f32_16x16x16_f16 v[80:83], v[98:99], a[134:135], v[80:83]// 000000007E6C: D3CD0050 15430D62
	v_exp_f32_e32 v59, v59                                     // 000000007E74: 7E76413B
	v_mfma_f32_16x16x16_f16 v[80:83], v[100:101], a[136:137], v[80:83]// 000000007E78: D3CD0050 15431164
	v_cvt_pkrtz_f16_f32 v144, v48, v49                         // 000000007E80: D2960090 00026330
	v_cvt_pkrtz_f16_f32 v145, v50, v51                         // 000000007E88: D2960091 00026732
	v_cvt_pkrtz_f16_f32 v146, v52, v53                         // 000000007E90: D2960092 00026B34
	v_mfma_f32_16x16x16_f16 v[80:83], v[102:103], a[138:139], v[80:83]// 000000007E98: D3CD0050 15431566
	v_cvt_pkrtz_f16_f32 v147, v54, v55                         // 000000007EA0: D2960093 00026F36
	v_cvt_pkrtz_f16_f32 v148, v56, v57                         // 000000007EA8: D2960094 00027338
	v_cvt_pkrtz_f16_f32 v149, v58, v59                         // 000000007EB0: D2960095 0002773A
	v_mfma_f32_16x16x16_f16 v[80:83], v[104:105], a[140:141], v[80:83]// 000000007EB8: D3CD0050 15431968
	v_add_u32_e32 v7, s66, v7                                  // 000000007EC0: 680E0E42
	v_add_u32_e32 v8, s66, v8                                  // 000000007EC4: 68101042
	v_mfma_f32_16x16x16_f16 v[80:83], v[106:107], a[142:143], v[80:83]// 000000007EC8: D3CD0050 15431D6A
	s_waitcnt lgkmcnt(0)                                       // 000000007ED0: BF8CC07F
	s_barrier                                                  // 000000007ED4: BF8A0000
	v_mfma_f32_16x16x16_f16 v[152:155], v[108:109], v[144:145], v[152:155]// 000000007ED8: D3CD0098 0663216C
	v_subrev_f32_dpp v72, v150, v72 quad_perm:[0,0,0,0] row_mask:0xf bank_mask:0xf// 000000007EE0: 069090FA FF000096
	v_subrev_f32_dpp v73, v150, v73 quad_perm:[1,1,1,1] row_mask:0xf bank_mask:0xf// 000000007EE8: 069292FA FF005596
	v_subrev_f32_dpp v74, v150, v74 quad_perm:[2,2,2,2] row_mask:0xf bank_mask:0xf// 000000007EF0: 069494FA FF00AA96
	v_mfma_f32_16x16x16_f16 v[156:159], v[110:111], v[144:145], v[156:159]// 000000007EF8: D3CD009C 0673216E
	v_subrev_f32_dpp v75, v150, v75 quad_perm:[3,3,3,3] row_mask:0xf bank_mask:0xf// 000000007F00: 069696FA FF00FF96
	v_subrev_f32_dpp v76, v150, v76 quad_perm:[0,0,0,0] row_mask:0xf bank_mask:0xf// 000000007F08: 069898FA FF000096
	v_subrev_f32_dpp v77, v150, v77 quad_perm:[1,1,1,1] row_mask:0xf bank_mask:0xf// 000000007F10: 069A9AFA FF005596
	v_mfma_f32_16x16x16_f16 v[160:163], v[112:113], v[144:145], v[160:163]// 000000007F18: D3CD00A0 06832170
	v_mul_f32_e32 v72, v48, v72                                // 000000007F20: 0A909130
	v_mul_f32_e32 v73, v49, v73                                // 000000007F24: 0A929331
	v_mul_f32_e32 v74, v50, v74                                // 000000007F28: 0A949532
	v_mfma_f32_16x16x16_f16 v[164:167], v[114:115], v[144:145], v[164:167]// 000000007F2C: D3CD00A4 06932172
	v_mul_f32_e32 v75, v51, v75                                // 000000007F34: 0A969733
	v_mul_f32_e32 v76, v52, v76                                // 000000007F38: 0A989934
	v_mul_f32_e32 v77, v53, v77                                // 000000007F3C: 0A9A9B35
	v_mfma_f32_16x16x16_f16 v[168:171], v[116:117], v[144:145], v[168:171]// 000000007F40: D3CD00A8 06A32174
	v_cvt_pkrtz_f16_f32 v72, v72, v73                          // 000000007F48: D2960048 00029348
	v_cvt_pkrtz_f16_f32 v73, v74, v75                          // 000000007F50: D2960049 0002974A
	v_cvt_pkrtz_f16_f32 v74, v76, v77                          // 000000007F58: D296004A 00029B4C
	v_mfma_f32_16x16x16_f16 v[172:175], v[118:119], v[144:145], v[172:175]// 000000007F60: D3CD00AC 06B32176
	v_mov_b32_dpp v16, v72 quad_perm:[1,0,3,2] row_mask:0xf bank_mask:0xf// 000000007F68: 7E2002FA FF00B148
	v_perm_b32 v48, v16, v72, v15                              // 000000007F70: D1ED0030 043E9110
	v_mov_b32_dpp v16, v73 quad_perm:[1,0,3,2] row_mask:0xf bank_mask:0xf// 000000007F78: 7E2002FA FF00B149
	v_mfma_f32_16x16x16_f16 v[176:179], v[120:121], v[144:145], v[176:179]// 000000007F80: D3CD00B0 06C32178
	v_perm_b32 v49, v16, v73, v15                              // 000000007F88: D1ED0031 043E9310
	v_mov_b32_dpp v16, v74 quad_perm:[1,0,3,2] row_mask:0xf bank_mask:0xf// 000000007F90: 7E2002FA FF00B14A
	v_perm_b32 v50, v16, v74, v15                              // 000000007F98: D1ED0032 043E9510
	v_mfma_f32_16x16x16_f16 v[180:183], v[122:123], v[144:145], v[180:183]// 000000007FA0: D3CD00B4 06D3217A
	ds_write_b32 v18, v48 offset:17408                         // 000000007FA8: D81A4400 00003012
	v_mfma_f32_16x16x16_f16 v[184:187], v[108:109], v[146:147], v[184:187]// 000000007FB0: D3CD00B8 06E3256C
	v_subrev_f32_dpp v78, v150, v78 quad_perm:[2,2,2,2] row_mask:0xf bank_mask:0xf// 000000007FB8: 069C9CFA FF00AA96
	v_subrev_f32_dpp v79, v150, v79 quad_perm:[3,3,3,3] row_mask:0xf bank_mask:0xf// 000000007FC0: 069E9EFA FF00FF96
	v_subrev_f32_dpp v80, v150, v80 quad_perm:[0,0,0,0] row_mask:0xf bank_mask:0xf// 000000007FC8: 06A0A0FA FF000096
	v_mfma_f32_16x16x16_f16 v[188:191], v[110:111], v[146:147], v[188:191]// 000000007FD0: D3CD00BC 06F3256E
	ds_write_b32 v18, v49 offset:17952                         // 000000007FD8: D81A4620 00003112
	v_mfma_f32_16x16x16_f16 v[192:195], v[112:113], v[146:147], v[192:195]// 000000007FE0: D3CD00C0 07032570
	v_subrev_f32_dpp v81, v150, v81 quad_perm:[1,1,1,1] row_mask:0xf bank_mask:0xf// 000000007FE8: 06A2A2FA FF005596
	v_subrev_f32_dpp v82, v150, v82 quad_perm:[2,2,2,2] row_mask:0xf bank_mask:0xf// 000000007FF0: 06A4A4FA FF00AA96
	v_subrev_f32_dpp v83, v150, v83 quad_perm:[3,3,3,3] row_mask:0xf bank_mask:0xf// 000000007FF8: 06A6A6FA FF00FF96
	v_mfma_f32_16x16x16_f16 v[196:199], v[114:115], v[146:147], v[196:199]// 000000008000: D3CD00C4 07132572
	ds_write_b32 v18, v50 offset:19712                         // 000000008008: D81A4D00 00003212
	v_mfma_f32_16x16x16_f16 v[200:203], v[116:117], v[146:147], v[200:203]// 000000008010: D3CD00C8 07232574
	v_mul_f32_e32 v78, v54, v78                                // 000000008018: 0A9C9D36
	v_mul_f32_e32 v79, v55, v79                                // 00000000801C: 0A9E9F37
	v_mul_f32_e32 v80, v56, v80                                // 000000008020: 0AA0A138
	v_mfma_f32_16x16x16_f16 v[204:207], v[118:119], v[146:147], v[204:207]// 000000008024: D3CD00CC 07332576
	v_mul_f32_e32 v81, v57, v81                                // 00000000802C: 0AA2A339
	v_mul_f32_e32 v82, v58, v82                                // 000000008030: 0AA4A53A
	v_mul_f32_e32 v83, v59, v83                                // 000000008034: 0AA6A73B
	v_mfma_f32_16x16x16_f16 v[208:211], v[120:121], v[146:147], v[208:211]// 000000008038: D3CD00D0 07432578
	v_cvt_pkrtz_f16_f32 v75, v78, v79                          // 000000008040: D296004B 00029F4E
	v_cvt_pkrtz_f16_f32 v76, v80, v81                          // 000000008048: D296004C 0002A350
	v_cvt_pkrtz_f16_f32 v77, v82, v83                          // 000000008050: D296004D 0002A752
	v_mfma_f32_16x16x16_f16 v[212:215], v[122:123], v[146:147], v[212:215]// 000000008058: D3CD00D4 0753257A
	v_mov_b32_dpp v16, v75 quad_perm:[1,0,3,2] row_mask:0xf bank_mask:0xf// 000000008060: 7E2002FA FF00B14B
	v_perm_b32 v51, v16, v75, v15                              // 000000008068: D1ED0033 043E9710
	v_mov_b32_dpp v16, v76 quad_perm:[1,0,3,2] row_mask:0xf bank_mask:0xf// 000000008070: 7E2002FA FF00B14C
	v_mfma_f32_16x16x16_f16 v[216:219], v[108:109], v[148:149], v[216:219]// 000000008078: D3CD00D8 0763296C
	v_perm_b32 v52, v16, v76, v15                              // 000000008080: D1ED0034 043E9910
	v_mov_b32_dpp v16, v77 quad_perm:[1,0,3,2] row_mask:0xf bank_mask:0xf// 000000008088: 7E2002FA FF00B14D
	v_perm_b32 v53, v16, v77, v15                              // 000000008090: D1ED0035 043E9B10
	v_mfma_f32_16x16x16_f16 v[220:223], v[110:111], v[148:149], v[220:223]// 000000008098: D3CD00DC 0773296E
	ds_write_b32 v18, v51 offset:20256                         // 0000000080A0: D81A4F20 00003312
	v_mfma_f32_16x16x16_f16 v[224:227], v[112:113], v[148:149], v[224:227]// 0000000080A8: D3CD00E0 07832970
	v_mfma_f32_16x16x16_f16 v[228:231], v[114:115], v[148:149], v[228:231]// 0000000080B0: D3CD00E4 07932972
	ds_write_b32 v18, v52 offset:22016                         // 0000000080B8: D81A5600 00003412
	ds_write_b32 v18, v53 offset:22560                         // 0000000080C0: D81A5820 00003512
	v_mfma_f32_16x16x16_f16 v[232:235], v[116:117], v[148:149], v[232:235]// 0000000080C8: D3CD00E8 07A32974
	v_mfma_f32_16x16x16_f16 v[236:239], v[118:119], v[148:149], v[236:239]// 0000000080D0: D3CD00EC 07B32976
	ds_write_b32 v13, v84 offset:4352                          // 0000000080D8: D81A1100 0000540D
	ds_write_b32 v13, v85 offset:5408                          // 0000000080E0: D81A1520 0000550D
	v_mfma_f32_16x16x16_f16 v[240:243], v[120:121], v[148:149], v[240:243]// 0000000080E8: D3CD00F0 07C32978
	s_nop 0                                                    // 0000000080F0: BF800000
	s_nop 0                                                    // 0000000080F4: BF800000
	s_nop 0                                                    // 0000000080F8: BF800000
	v_mfma_f32_16x16x16_f16 v[244:247], v[122:123], v[148:149], v[244:247]// 0000000080FC: D3CD00F4 07D3297A
	ds_write_b32 v13, v86 offset:4480                          // 000000008104: D81A1180 0000560D
	ds_write_b32 v13, v87 offset:5536                          // 00000000810C: D81A15A0 0000570D
	s_barrier                                                  // 000000008114: BF8A0000
	v_mfma_f32_16x16x16_f16 a[160:163], a[144:145], v[72:73], a[160:163]// 000000008118: D3CD80A0 0E829190
	buffer_atomic_add_f32 v136, v7, s[32:35], 0 offen          // 000000008120: E1341000 80088807
	v_mfma_f32_16x16x16_f16 a[164:167], a[146:147], v[72:73], a[164:167]// 000000008128: D3CD80A4 0E929192
	ds_read_b32 v124, v21 offset:50688                         // 000000008130: D86CC600 7C000015
	ds_read_b32 v150, v21 offset:50944                         // 000000008138: D86CC700 96000015
	v_mfma_f32_16x16x16_f16 a[168:171], a[148:149], v[72:73], a[168:171]// 000000008140: D3CD80A8 0EA29194
	s_waitcnt lgkmcnt(6)                                       // 000000008148: BF8CC67F
	s_barrier                                                  // 00000000814C: BF8A0000
	v_mfma_f32_16x16x16_f16 a[172:175], a[150:151], v[72:73], a[172:175]// 000000008150: D3CD80AC 0EB29196
	ds_read_b128 v[48:51], v17 offset:17408                    // 000000008158: D9FE4400 30000011
	v_mfma_f32_16x16x16_f16 a[176:179], a[152:153], v[72:73], a[176:179]// 000000008160: D3CD80B0 0EC29198
	v_mfma_f32_16x16x16_f16 a[180:183], a[154:155], v[72:73], a[180:183]// 000000008168: D3CD80B4 0ED2919A
	ds_read_b128 v[52:55], v17 offset:18560                    // 000000008170: D9FE4880 34000011
	v_mfma_f32_16x16x16_f16 a[184:187], a[156:157], v[72:73], a[184:187]// 000000008178: D3CD80B8 0EE2919C
	buffer_atomic_add_f32 v137, v8, s[32:35], 0 offen          // 000000008180: E1341000 80088908
	v_mfma_f32_16x16x16_f16 a[188:191], a[158:159], v[72:73], a[188:191]// 000000008188: D3CD80BC 0EF2919E
	ds_read_b128 v[56:59], v17 offset:19712                    // 000000008190: D9FE4D00 38000011
	v_mfma_f32_16x16x16_f16 a[192:195], a[144:145], v[74:75], a[192:195]// 000000008198: D3CD80C0 0F029590
	v_mfma_f32_16x16x16_f16 a[196:199], a[146:147], v[74:75], a[196:199]// 0000000081A0: D3CD80C4 0F129592
	ds_read_b128 v[60:63], v17 offset:20864                    // 0000000081A8: D9FE5180 3C000011
	v_mfma_f32_16x16x16_f16 a[200:203], a[148:149], v[74:75], a[200:203]// 0000000081B0: D3CD80C8 0F229594
	v_mfma_f32_16x16x16_f16 a[204:207], a[150:151], v[74:75], a[204:207]// 0000000081B8: D3CD80CC 0F329596
	ds_read_b128 v[64:67], v17 offset:22016                    // 0000000081C0: D9FE5600 40000011
	v_mfma_f32_16x16x16_f16 a[208:211], a[152:153], v[74:75], a[208:211]// 0000000081C8: D3CD80D0 0F429598
	buffer_atomic_add_f32 v138, v7, s[32:35], 0 offen offset:128// 0000000081D0: E1341080 80088A07
	v_mfma_f32_16x16x16_f16 a[212:215], a[154:155], v[74:75], a[212:215]// 0000000081D8: D3CD80D4 0F52959A
	ds_read_b128 v[68:71], v17 offset:23168                    // 0000000081E0: D9FE5A80 44000011
	v_mfma_f32_16x16x16_f16 a[216:219], a[156:157], v[74:75], a[216:219]// 0000000081E8: D3CD80D8 0F62959C
	v_mfma_f32_16x16x16_f16 a[220:223], a[158:159], v[74:75], a[220:223]// 0000000081F0: D3CD80DC 0F72959E
	ds_write_b32 v13, v88 offset:13056                         // 0000000081F8: D81A3300 0000580D
	v_mfma_f32_16x16x16_f16 a[224:227], a[144:145], v[76:77], a[224:227]// 000000008200: D3CD80E0 0F829990
	v_mfma_f32_16x16x16_f16 a[228:231], a[146:147], v[76:77], a[228:231]// 000000008208: D3CD80E4 0F929992
	ds_write_b32 v13, v89 offset:14112                         // 000000008210: D81A3720 0000590D
	v_mfma_f32_16x16x16_f16 a[232:235], a[148:149], v[76:77], a[232:235]// 000000008218: D3CD80E8 0FA29994
	buffer_atomic_add_f32 v139, v8, s[32:35], 0 offen offset:128// 000000008220: E1341080 80088B08
	v_mfma_f32_16x16x16_f16 a[236:239], a[150:151], v[76:77], a[236:239]// 000000008228: D3CD80EC 0FB29996
	ds_write_b32 v13, v90 offset:13184                         // 000000008230: D81A3380 00005A0D
	v_mfma_f32_16x16x16_f16 a[240:243], a[152:153], v[76:77], a[240:243]// 000000008238: D3CD80F0 0FC29998
	v_mfma_f32_16x16x16_f16 a[244:247], a[154:155], v[76:77], a[244:247]// 000000008240: D3CD80F4 0FD2999A
	ds_write_b32 v13, v91 offset:14240                         // 000000008248: D81A37A0 00005B0D
	v_mfma_f32_16x16x16_f16 a[248:251], a[156:157], v[76:77], a[248:251]// 000000008250: D3CD80F8 0FE2999C
	v_mfma_f32_16x16x16_f16 a[252:255], a[158:159], v[76:77], a[252:255]// 000000008258: D3CD80FC 0FF2999E
	s_waitcnt vmcnt(8) lgkmcnt(4)                              // 000000008260: BF8C0478
	s_barrier                                                  // 000000008264: BF8A0000
	v_mfma_f32_16x16x16_f16 v[128:131], v[48:49], a[48:49], 0  // 000000008268: D3CD0080 12026130
	v_cmp_eq_u32_e32 vcc, v124, v151                           // 000000008270: 7D952F7C
	v_mov_b32_e32 v28, 0                                       // 000000008274: 7E380280
	v_cndmask_b32_e32 v124, v124, v28, vcc                     // 000000008278: 00F8397C
	v_mul_f32_e32 v124, s48, v124                              // 00000000827C: 0AF8F830
	s_nop 0                                                    // 000000008280: BF800000
	v_mfma_f32_16x16x16_f16 v[128:131], v[50:51], a[52:53], v[128:131]// 000000008284: D3CD0080 16026932
	ds_read_b128 a[144:147], v10                               // 00000000828C: DBFE0000 9000000A
	v_mov_b32_e32 v32, 0                                       // 000000008294: 7E400280
	s_mov_b64 exec, s[86:87]                                   // 000000008298: BEFE0156
	buffer_load_dword v32, v1, s[8:11], 0 idxen                // 00000000829C: E0502000 80022001
	s_mov_b64 exec, s[84:85]                                   // 0000000082A4: BEFE0154
	v_mfma_f32_16x16x16_f16 v[128:131], v[52:53], a[56:57], v[128:131]// 0000000082A8: D3CD0080 16027134
	v_mfma_f32_16x16x16_f16 v[128:131], v[54:55], a[60:61], v[128:131]// 0000000082B0: D3CD0080 16027936
	ds_read_b128 a[148:151], v10 offset:512                    // 0000000082B8: DBFE0200 9400000A
	v_mov_b32_e32 v33, 0                                       // 0000000082C0: 7E420280
	s_mov_b64 exec, s[86:87]                                   // 0000000082C4: BEFE0156
	buffer_load_dword v33, v2, s[8:11], 0 idxen                // 0000000082C8: E0502000 80022102
	s_mov_b64 exec, s[84:85]                                   // 0000000082D0: BEFE0154
	v_mfma_f32_16x16x16_f16 v[128:131], v[56:57], a[64:65], v[128:131]// 0000000082D4: D3CD0080 16028138
	v_perm_b32 v84, v37, v36, s63                              // 0000000082DC: D1ED0054 00FE4925
	v_perm_b32 v85, v37, v36, s64                              // 0000000082E4: D1ED0055 01024925
	v_mfma_f32_16x16x16_f16 v[128:131], v[58:59], a[68:69], v[128:131]// 0000000082EC: D3CD0080 1602893A
	ds_read_b128 a[152:155], v10 offset:2176                   // 0000000082F4: DBFE0880 9800000A
	v_mov_b32_e32 v34, 0                                       // 0000000082FC: 7E440280
	s_mov_b64 exec, s[86:87]                                   // 000000008300: BEFE0156
	buffer_load_dword v34, v3, s[8:11], 0 idxen                // 000000008304: E0502000 80022203
	s_mov_b64 exec, s[84:85]                                   // 00000000830C: BEFE0154
	v_mfma_f32_16x16x16_f16 v[128:131], v[60:61], a[72:73], v[128:131]// 000000008310: D3CD0080 1602913C
	v_perm_b32 v86, v39, v38, s63                              // 000000008318: D1ED0056 00FE4D27
	v_perm_b32 v87, v39, v38, s64                              // 000000008320: D1ED0057 01024D27
	v_mfma_f32_16x16x16_f16 v[128:131], v[62:63], a[76:77], v[128:131]// 000000008328: D3CD0080 1602993E
	ds_read_b128 a[156:159], v10 offset:2688                   // 000000008330: DBFE0A80 9C00000A
	v_mov_b32_e32 v35, 0                                       // 000000008338: 7E460280
	s_mov_b64 exec, s[86:87]                                   // 00000000833C: BEFE0156
	buffer_load_dword v35, v4, s[8:11], 0 idxen                // 000000008340: E0502000 80022304
	s_mov_b64 exec, s[84:85]                                   // 000000008348: BEFE0154
	v_mfma_f32_16x16x16_f16 v[128:131], v[64:65], a[80:81], v[128:131]// 00000000834C: D3CD0080 1602A140
	v_perm_b32 v88, v45, v44, s63                              // 000000008354: D1ED0058 00FE592D
	v_perm_b32 v89, v45, v44, s64                              // 00000000835C: D1ED0059 0102592D
	v_mfma_f32_16x16x16_f16 v[128:131], v[66:67], a[84:85], v[128:131]// 000000008364: D3CD0080 1602A942
	ds_read_b128 v[92:95], v10 offset:8704                     // 00000000836C: D9FE2200 5C00000A
	v_mov_b32_e32 v40, 0                                       // 000000008374: 7E500280
	s_mov_b64 exec, s[86:87]                                   // 000000008378: BEFE0156
	buffer_load_dword v40, v248, s[20:23], 0 idxen             // 00000000837C: E0502000 800528F8
	s_mov_b64 exec, s[84:85]                                   // 000000008384: BEFE0154
	v_mfma_f32_16x16x16_f16 v[128:131], v[68:69], a[88:89], v[128:131]// 000000008388: D3CD0080 1602B144
	v_perm_b32 v90, v47, v46, s63                              // 000000008390: D1ED005A 00FE5D2F
	v_perm_b32 v91, v47, v46, s64                              // 000000008398: D1ED005B 01025D2F
	v_mfma_f32_16x16x16_f16 v[128:131], v[70:71], a[92:93], v[128:131]// 0000000083A0: D3CD0080 1602B946
	ds_read_b128 v[96:99], v10 offset:9216                     // 0000000083A8: D9FE2400 6000000A
	v_mov_b32_e32 v41, 0                                       // 0000000083B0: 7E520280
	s_mov_b64 exec, s[86:87]                                   // 0000000083B4: BEFE0156
	buffer_load_dword v41, v249, s[20:23], 0 idxen             // 0000000083B8: E0502000 800529F9
	s_mov_b64 exec, s[84:85]                                   // 0000000083C0: BEFE0154
	v_mfma_f32_16x16x16_f16 v[132:135], v[48:49], a[50:51], 0  // 0000000083C4: D3CD0084 12026530
	v_mov_b32_dpp v127, v124 quad_perm:[3,3,3,3] row_mask:0xf bank_mask:0xf// 0000000083CC: 7EFE02FA FF00FF7C
	v_mov_b32_dpp v126, v124 quad_perm:[2,2,2,2] row_mask:0xf bank_mask:0xf// 0000000083D4: 7EFC02FA FF00AA7C
	v_mfma_f32_16x16x16_f16 v[132:135], v[50:51], a[54:55], v[132:135]// 0000000083DC: D3CD0084 16126D32
	ds_read_b128 v[100:103], v10 offset:10880                  // 0000000083E4: D9FE2A80 6400000A
	v_mov_b32_e32 v42, 0                                       // 0000000083EC: 7E540280
	s_mov_b64 exec, s[86:87]                                   // 0000000083F0: BEFE0156
	buffer_load_dword v42, v250, s[20:23], 0 idxen             // 0000000083F4: E0502000 80052AFA
	s_mov_b64 exec, s[84:85]                                   // 0000000083FC: BEFE0154
	v_mfma_f32_16x16x16_f16 v[132:135], v[52:53], a[58:59], v[132:135]// 000000008400: D3CD0084 16127534
	v_mov_b32_dpp v125, v124 quad_perm:[1,1,1,1] row_mask:0xf bank_mask:0xf// 000000008408: 7EFA02FA FF00557C
	v_mov_b32_dpp v124, v124 quad_perm:[0,0,0,0] row_mask:0xf bank_mask:0xf// 000000008410: 7EF802FA FF00007C
	s_add_u32 s60, 64, s59                                     // 000000008418: 803C3BC0
	v_mfma_f32_16x16x16_f16 v[132:135], v[54:55], a[62:63], v[132:135]// 00000000841C: D3CD0084 16127D36
	ds_read_b128 v[104:107], v10 offset:11392                  // 000000008424: D9FE2C80 6800000A
	v_mov_b32_e32 v43, 0                                       // 00000000842C: 7E560280
	s_mov_b64 exec, s[86:87]                                   // 000000008430: BEFE0156
	buffer_load_dword v43, v251, s[20:23], 0 idxen             // 000000008434: E0502000 80052BFB
	s_mov_b64 exec, s[84:85]                                   // 00000000843C: BEFE0154
	v_mfma_f32_16x16x16_f16 v[132:135], v[56:57], a[66:67], v[132:135]// 000000008440: D3CD0084 16128538
	s_cmp_lt_u32 s60, s58                                      // 000000008448: BF0A3A3C
	s_cselect_b32 s68, s68, 0                                  // 00000000844C: 85448044
	s_cselect_b32 s95, s95, 0                                  // 000000008450: 855F805F
	s_cselect_b32 s69, s69, 0                                  // 000000008454: 85458045
	v_mfma_f32_16x16x16_f16 v[132:135], v[58:59], a[70:71], v[132:135]// 000000008458: D3CD0084 16128D3A
	buffer_load_dword v9, s[24:27], 0 idxen lds                // 000000008460: E0512000 80060009
	v_mfma_f32_16x16x16_f16 v[132:135], v[60:61], a[74:75], v[132:135]// 000000008468: D3CD0084 1612953C
	v_add_u32_e32 v1, s68, v1                                  // 000000008470: 68020244
	v_add_u32_e32 v2, s68, v2                                  // 000000008474: 68040444
	;; [unrolled: 1-line block ×3, first 2 shown]
	v_add_u32_e32 v4, s68, v4                                  // 00000000847C: 68080844
	v_mfma_f32_16x16x16_f16 v[132:135], v[62:63], a[78:79], v[132:135]// 000000008480: D3CD0084 16129D3E
	v_add_u32_e32 v248, s95, v248                              // 000000008488: 69F1F05F
	v_add_u32_e32 v249, s95, v249                              // 00000000848C: 69F3F25F
	v_add_u32_e32 v250, s95, v250                              // 000000008490: 69F5F45F
	v_add_u32_e32 v251, s95, v251                              // 000000008494: 69F7F65F
	v_mfma_f32_16x16x16_f16 v[132:135], v[64:65], a[82:83], v[132:135]// 000000008498: D3CD0084 1612A540
	s_mov_b32 m0, s75                                          // 0000000084A0: BEFC004B
	v_add_u32_e32 v9, s69, v9                                  // 0000000084A4: 68121245
	v_mfma_f32_16x16x16_f16 v[132:135], v[66:67], a[86:87], v[132:135]// 0000000084A8: D3CD0084 1612AD42
	s_cmp_ge_u32 s59, s99                                      // 0000000084B0: BF09633B
	s_cselect_b32 s66, s67, s66                                // 0000000084B4: 85424243
	v_mfma_f32_16x16x16_f16 v[132:135], v[68:69], a[90:91], v[132:135]// 0000000084B8: D3CD0084 1612B544
	s_addk_i32 s59, 0x10                                       // 0000000084C0: B73B0010
	s_nop 0                                                    // 0000000084C4: BF800000
	s_cmp_lt_i32 s59, s58                                      // 0000000084C8: BF043A3B
	v_mfma_f32_16x16x16_f16 v[132:135], v[70:71], a[94:95], v[132:135]// 0000000084CC: D3CD0084 1612BD46
	s_cbranch_scc0 label_11C3                                  // 0000000084D4: BF840001
	s_branch label_09E4                                        // 0000000084D8: BF82F82D

00000000000084dc <label_11C3>:
	s_nop 0                                                    // 0000000084DC: BF800000
	s_nop 0                                                    // 0000000084E0: BF800000
	s_branch label_19A5                                        // 0000000084E4: BF8207D3

00000000000084e8 <label_11C6>:
	s_waitcnt lgkmcnt(0)                                       // 0000000084E8: BF8CC07F
	s_barrier                                                  // 0000000084EC: BF8A0000
	v_mfma_f32_16x16x16_f16 v[48:51], a[144:145], a[0:1], 0    // 0000000084F0: D3CD0030 1A020190
	v_mul_f32_e32 v128, s47, v128                              // 0000000084F8: 0B01002F
	v_mul_f32_e32 v129, s47, v129                              // 0000000084FC: 0B03022F
	v_mfma_f32_16x16x16_f16 v[48:51], a[146:147], a[2:3], v[48:51]// 000000008500: D3CD0030 1CC20592
	ds_write_b32 v11, v44 offset:8704                          // 000000008508: D81A2200 00002C0B
	ds_write_b32 v11, v45 offset:9760                          // 000000008510: D81A2620 00002D0B
	v_mfma_f32_16x16x16_f16 v[48:51], a[148:149], a[4:5], v[48:51]// 000000008518: D3CD0030 1CC20994
	v_mul_f32_e32 v130, s47, v130                              // 000000008520: 0B05042F
	v_mul_f32_e32 v131, s47, v131                              // 000000008524: 0B07062F
	v_mfma_f32_16x16x16_f16 v[48:51], a[150:151], a[6:7], v[48:51]// 000000008528: D3CD0030 1CC20D96
	ds_write_b32 v11, v46 offset:8832                          // 000000008530: D81A2280 00002E0B
	ds_write_b32 v11, v47 offset:9888                          // 000000008538: D81A26A0 00002F0B
	v_mfma_f32_16x16x16_f16 v[48:51], a[152:153], a[8:9], v[48:51]// 000000008540: D3CD0030 1CC21198
	v_mul_f32_e32 v132, s47, v132                              // 000000008548: 0B09082F
	v_mul_f32_e32 v133, s47, v133                              // 00000000854C: 0B0B0A2F
	v_mfma_f32_16x16x16_f16 v[48:51], a[154:155], a[10:11], v[48:51]// 000000008550: D3CD0030 1CC2159A
	ds_write_b64 v20, v[128:129] offset:24320                  // 000000008558: D89A5F00 00008014
	v_mfma_f32_16x16x16_f16 v[48:51], a[156:157], a[12:13], v[48:51]// 000000008560: D3CD0030 1CC2199C
	v_mul_f32_e32 v134, s47, v134                              // 000000008568: 0B0D0C2F
	v_mul_f32_e32 v135, s47, v135                              // 00000000856C: 0B0F0E2F
	v_mfma_f32_16x16x16_f16 v[48:51], a[158:159], a[14:15], v[48:51]// 000000008570: D3CD0030 1CC21D9E
	ds_write_b64 v20, v[130:131] offset:24832                  // 000000008578: D89A6100 00008214
	v_mfma_f32_16x16x16_f16 v[52:55], a[144:145], a[16:17], 0  // 000000008580: D3CD0034 1A022190
	buffer_atomic_add_f32 v140, v7, s[32:35], 0 offen offset:256// 000000008588: E1341100 80088C07
	v_mfma_f32_16x16x16_f16 v[52:55], a[146:147], a[18:19], v[52:55]// 000000008590: D3CD0034 1CD22592
	ds_write_b64 v20, v[132:133] offset:25344                  // 000000008598: D89A6300 00008414
	v_mfma_f32_16x16x16_f16 v[52:55], a[148:149], a[20:21], v[52:55]// 0000000085A0: D3CD0034 1CD22994
	v_mfma_f32_16x16x16_f16 v[52:55], a[150:151], a[22:23], v[52:55]// 0000000085A8: D3CD0034 1CD22D96
	ds_write_b64 v20, v[134:135] offset:25856                  // 0000000085B0: D89A6500 00008614
	v_mfma_f32_16x16x16_f16 v[52:55], a[152:153], a[24:25], v[52:55]// 0000000085B8: D3CD0034 1CD23198
	buffer_atomic_add_f32 v141, v8, s[32:35], 0 offen offset:256// 0000000085C0: E1341100 80088D08
	v_mfma_f32_16x16x16_f16 v[52:55], a[154:155], a[26:27], v[52:55]// 0000000085C8: D3CD0034 1CD2359A
	ds_read_b128 v[108:111], v12 offset:13056                  // 0000000085D0: D9FE3300 6C00000C
	ds_write_b32 v11, v36                                      // 0000000085D8: D81A0000 0000240B
	v_mfma_f32_16x16x16_f16 v[52:55], a[156:157], a[28:29], v[52:55]// 0000000085E0: D3CD0034 1CD2399C
	v_mfma_f32_16x16x16_f16 v[52:55], a[158:159], a[30:31], v[52:55]// 0000000085E8: D3CD0034 1CD23D9E
	v_mfma_f32_16x16x16_f16 v[56:59], a[144:145], a[32:33], 0  // 0000000085F0: D3CD0038 1A024190
	ds_read_b128 v[112:115], v12 offset:13568                  // 0000000085F8: D9FE3500 7000000C
	ds_write_b32 v11, v37 offset:1056                          // 000000008600: D81A0420 0000250B
	v_mfma_f32_16x16x16_f16 v[56:59], a[146:147], a[34:35], v[56:59]// 000000008608: D3CD0038 1CE24592
	buffer_atomic_add_f32 v142, v7, s[32:35], 0 offen offset:384// 000000008610: E1341180 80088E07
	v_mfma_f32_16x16x16_f16 v[56:59], a[148:149], a[36:37], v[56:59]// 000000008618: D3CD0038 1CE24994
	v_mfma_f32_16x16x16_f16 v[56:59], a[150:151], a[38:39], v[56:59]// 000000008620: D3CD0038 1CE24D96
	ds_read_b128 v[116:119], v12 offset:15232                  // 000000008628: D9FE3B80 7400000C
	ds_write_b32 v11, v38 offset:128                           // 000000008630: D81A0080 0000260B
	v_mfma_f32_16x16x16_f16 v[56:59], a[152:153], a[40:41], v[56:59]// 000000008638: D3CD0038 1CE25198
	v_mfma_f32_16x16x16_f16 v[56:59], a[154:155], a[42:43], v[56:59]// 000000008640: D3CD0038 1CE2559A
	buffer_atomic_add_f32 v143, v8, s[32:35], 0 offen offset:384// 000000008648: E1341180 80088F08
	v_mfma_f32_16x16x16_f16 v[56:59], a[156:157], a[44:45], v[56:59]// 000000008650: D3CD0038 1CE2599C
	ds_read_b128 v[120:123], v12 offset:15744                  // 000000008658: D9FE3D80 7800000C
	ds_write_b32 v11, v39 offset:1184                          // 000000008660: D81A04A0 0000270B
	v_mfma_f32_16x16x16_f16 v[56:59], a[158:159], a[46:47], v[56:59]// 000000008668: D3CD0038 1CE25D9E
	s_add_i32 s82, s59, s97                                    // 000000008670: 8152613B
	s_sub_i32 s82, s82, 1                                      // 000000008674: 81D28152
	s_add_i32 s81, s59, 16                                     // 000000008678: 8151903B
	s_sub_i32 s81, s81, s98                                    // 00000000867C: 81D16251
	s_add_i32 s81, s81, 1                                      // 000000008680: 81518151
	s_branch label_122E                                        // 000000008684: BF820000

0000000000008688 <label_122E>:
	s_add_i32 s62, 0, s46                                      // 000000008688: 813E2E80
	s_mul_i32 s62, s62, 16                                     // 00000000868C: 923E903E
	s_add_i32 s62, s80, s62                                    // 000000008690: 813E3E50
	s_add_i32 s61, s62, 16                                     // 000000008694: 813D903E
	s_add_i32 s61, s61, 16                                     // 000000008698: 813D903D
	s_cmp_lt_i32 s61, s81                                      // 00000000869C: BF04513D
	s_cselect_b32 s60, 1, 0                                    // 0000000086A0: 853C8081
	s_sub_i32 s62, s62, 16                                     // 0000000086A4: 81BE903E
	s_cmp_gt_i32 s62, s82                                      // 0000000086A8: BF02523E
	s_cselect_b32 s61, 1, 0                                    // 0000000086AC: 853D8081
	s_or_b32 s60, s60, s61                                     // 0000000086B0: 873C3D3C
	s_cmp_eq_i32 s60, 1                                        // 0000000086B4: BF00813C
	s_cbranch_scc1 label_12C1                                  // 0000000086B8: BF850085
	s_add_i32 s61, s62, 32                                     // 0000000086BC: 813DA03E
	s_add_i32 s62, s62, 16                                     // 0000000086C0: 813E903E
	s_cmp_lt_i32 s62, s81                                      // 0000000086C4: BF04513E
	s_cselect_b32 s60, 1, 0                                    // 0000000086C8: 853C8081
	s_cmp_gt_i32 s61, s82                                      // 0000000086CC: BF02523D
	s_cselect_b32 s61, 1, 0                                    // 0000000086D0: 853D8081
	s_or_b32 s60, s60, s61                                     // 0000000086D4: 873C3D3C
	s_cmp_eq_i32 s60, 1                                        // 0000000086D8: BF00813C
	s_cbranch_scc1 label_1274                                  // 0000000086DC: BF85002F
	s_branch label_1245                                        // 0000000086E0: BF820000

00000000000086e4 <label_1245>:
	s_add_i32 s62, 4, s46                                      // 0000000086E4: 813E2E84
	s_mul_i32 s62, s62, 16                                     // 0000000086E8: 923E903E
	s_add_i32 s62, s80, s62                                    // 0000000086EC: 813E3E50
	s_add_i32 s61, s62, 16                                     // 0000000086F0: 813D903E
	s_add_i32 s61, s61, 16                                     // 0000000086F4: 813D903D
	s_cmp_lt_i32 s61, s81                                      // 0000000086F8: BF04513D
	s_cselect_b32 s60, 1, 0                                    // 0000000086FC: 853C8081
	s_sub_i32 s62, s62, 16                                     // 000000008700: 81BE903E
	s_cmp_gt_i32 s62, s82                                      // 000000008704: BF02523E
	s_cselect_b32 s61, 1, 0                                    // 000000008708: 853D8081
	s_or_b32 s60, s60, s61                                     // 00000000870C: 873C3D3C
	s_cmp_eq_i32 s60, 1                                        // 000000008710: BF00813C
	s_cbranch_scc1 label_1313                                  // 000000008714: BF8500C0
	s_add_i32 s61, s62, 32                                     // 000000008718: 813DA03E
	s_add_i32 s62, s62, 16                                     // 00000000871C: 813E903E
	s_cmp_lt_i32 s62, s81                                      // 000000008720: BF04513E
	s_cselect_b32 s60, 1, 0                                    // 000000008724: 853C8081
	s_cmp_gt_i32 s61, s82                                      // 000000008728: BF02523D
	s_cselect_b32 s61, 1, 0                                    // 00000000872C: 853D8081
	s_or_b32 s60, s60, s61                                     // 000000008730: 873C3D3C
	s_cmp_eq_i32 s60, 1                                        // 000000008734: BF00813C
	s_cbranch_scc1 label_12C6                                  // 000000008738: BF85006A
	s_branch label_125C                                        // 00000000873C: BF820000

0000000000008740 <label_125C>:
	s_add_i32 s62, 8, s46                                      // 000000008740: 813E2E88
	s_mul_i32 s62, s62, 16                                     // 000000008744: 923E903E
	s_add_i32 s62, s80, s62                                    // 000000008748: 813E3E50
	s_add_i32 s61, s62, 16                                     // 00000000874C: 813D903E
	s_add_i32 s61, s61, 16                                     // 000000008750: 813D903D
	s_cmp_lt_i32 s61, s81                                      // 000000008754: BF04513D
	s_cselect_b32 s60, 1, 0                                    // 000000008758: 853C8081
	s_sub_i32 s62, s62, 16                                     // 00000000875C: 81BE903E
	s_cmp_gt_i32 s62, s82                                      // 000000008760: BF02523E
	s_cselect_b32 s61, 1, 0                                    // 000000008764: 853D8081
	s_or_b32 s60, s60, s61                                     // 000000008768: 873C3D3C
	s_cmp_eq_i32 s60, 1                                        // 00000000876C: BF00813C
	s_cbranch_scc1 label_1365                                  // 000000008770: BF8500FB
	s_add_i32 s61, s62, 32                                     // 000000008774: 813DA03E
	s_add_i32 s62, s62, 16                                     // 000000008778: 813E903E
	s_cmp_lt_i32 s62, s81                                      // 00000000877C: BF04513E
	s_cselect_b32 s60, 1, 0                                    // 000000008780: 853C8081
	s_cmp_gt_i32 s61, s82                                      // 000000008784: BF02523D
	s_cselect_b32 s61, 1, 0                                    // 000000008788: 853D8081
	s_or_b32 s60, s60, s61                                     // 00000000878C: 873C3D3C
	s_cmp_eq_i32 s60, 1                                        // 000000008790: BF00813C
	s_cbranch_scc1 label_1318                                  // 000000008794: BF8500A5
	s_branch label_136A                                        // 000000008798: BF8200F6

000000000000879c <label_1274>:
	v_and_b32_e32 v28, 15, v0                                  // 00000000879C: 2638008F
	v_add_u32_e32 v28, s62, v28                                // 0000000087A0: 6838383E
	v_lshrrev_b32_e32 v29, 4, v0                               // 0000000087A4: 203A0084
	v_lshlrev_b32_e32 v29, 2, v29                              // 0000000087A8: 243A3A82
	v_add_i32 v29, 0, v29                                      // 0000000087AC: D29C001D 00023A80
	v_add_i32 v29, s59, v29                                    // 0000000087B4: D29C001D 00023A3B
	v_sub_i32 v29, v29, v28                                    // 0000000087BC: D29D001D 0002391D
	v_cmp_ge_i32_e64 vcc, v29, s98                             // 0000000087C4: D0C6006A 0000C51D
	v_sub_i32 v29, 0, v29                                      // 0000000087CC: D29D001D 00023A80
	v_cndmask_b32_e32 v48, v48, v151, vcc                      // 0000000087D4: 00612F30
	v_cmp_ge_i32_e64 vcc, v29, s97                             // 0000000087D8: D0C6006A 0000C31D
	s_nop 1                                                    // 0000000087E0: BF800001
	v_cndmask_b32_e32 v48, v48, v151, vcc                      // 0000000087E4: 00612F30
	v_and_b32_e32 v28, 15, v0                                  // 0000000087E8: 2638008F
	v_add_u32_e32 v28, s62, v28                                // 0000000087EC: 6838383E
	v_lshrrev_b32_e32 v29, 4, v0                               // 0000000087F0: 203A0084
	v_lshlrev_b32_e32 v29, 2, v29                              // 0000000087F4: 243A3A82
	v_add_i32 v29, 1, v29                                      // 0000000087F8: D29C001D 00023A81
	v_add_i32 v29, s59, v29                                    // 000000008800: D29C001D 00023A3B
	v_sub_i32 v29, v29, v28                                    // 000000008808: D29D001D 0002391D
	v_cmp_ge_i32_e64 vcc, v29, s98                             // 000000008810: D0C6006A 0000C51D
	v_sub_i32 v29, 0, v29                                      // 000000008818: D29D001D 00023A80
	v_cndmask_b32_e32 v49, v49, v151, vcc                      // 000000008820: 00632F31
	v_cmp_ge_i32_e64 vcc, v29, s97                             // 000000008824: D0C6006A 0000C31D
	s_nop 1                                                    // 00000000882C: BF800001
	v_cndmask_b32_e32 v49, v49, v151, vcc                      // 000000008830: 00632F31
	v_and_b32_e32 v28, 15, v0                                  // 000000008834: 2638008F
	v_add_u32_e32 v28, s62, v28                                // 000000008838: 6838383E
	v_lshrrev_b32_e32 v29, 4, v0                               // 00000000883C: 203A0084
	v_lshlrev_b32_e32 v29, 2, v29                              // 000000008840: 243A3A82
	v_add_i32 v29, 2, v29                                      // 000000008844: D29C001D 00023A82
	v_add_i32 v29, s59, v29                                    // 00000000884C: D29C001D 00023A3B
	v_sub_i32 v29, v29, v28                                    // 000000008854: D29D001D 0002391D
	v_cmp_ge_i32_e64 vcc, v29, s98                             // 00000000885C: D0C6006A 0000C51D
	v_sub_i32 v29, 0, v29                                      // 000000008864: D29D001D 00023A80
	v_cndmask_b32_e32 v50, v50, v151, vcc                      // 00000000886C: 00652F32
	v_cmp_ge_i32_e64 vcc, v29, s97                             // 000000008870: D0C6006A 0000C31D
	s_nop 1                                                    // 000000008878: BF800001
	v_cndmask_b32_e32 v50, v50, v151, vcc                      // 00000000887C: 00652F32
	v_and_b32_e32 v28, 15, v0                                  // 000000008880: 2638008F
	v_add_u32_e32 v28, s62, v28                                // 000000008884: 6838383E
	v_lshrrev_b32_e32 v29, 4, v0                               // 000000008888: 203A0084
	v_lshlrev_b32_e32 v29, 2, v29                              // 00000000888C: 243A3A82
	v_add_i32 v29, 3, v29                                      // 000000008890: D29C001D 00023A83
	v_add_i32 v29, s59, v29                                    // 000000008898: D29C001D 00023A3B
	v_sub_i32 v29, v29, v28                                    // 0000000088A0: D29D001D 0002391D
	v_cmp_ge_i32_e64 vcc, v29, s98                             // 0000000088A8: D0C6006A 0000C51D
	v_sub_i32 v29, 0, v29                                      // 0000000088B0: D29D001D 00023A80
	v_cndmask_b32_e32 v51, v51, v151, vcc                      // 0000000088B8: 00672F33
	v_cmp_ge_i32_e64 vcc, v29, s97                             // 0000000088BC: D0C6006A 0000C31D
	s_nop 1                                                    // 0000000088C4: BF800001
	v_cndmask_b32_e32 v51, v51, v151, vcc                      // 0000000088C8: 00672F33
	s_branch label_1245                                        // 0000000088CC: BF82FF85

00000000000088d0 <label_12C1>:
	v_mov_b32_e32 v48, v151                                    // 0000000088D0: 7E600397
	v_mov_b32_e32 v49, v151                                    // 0000000088D4: 7E620397
	v_mov_b32_e32 v50, v151                                    // 0000000088D8: 7E640397
	v_mov_b32_e32 v51, v151                                    // 0000000088DC: 7E660397
	s_branch label_1245                                        // 0000000088E0: BF82FF80

00000000000088e4 <label_12C6>:
	v_and_b32_e32 v28, 15, v0                                  // 0000000088E4: 2638008F
	v_add_u32_e32 v28, s62, v28                                // 0000000088E8: 6838383E
	v_lshrrev_b32_e32 v29, 4, v0                               // 0000000088EC: 203A0084
	v_lshlrev_b32_e32 v29, 2, v29                              // 0000000088F0: 243A3A82
	v_add_i32 v29, 0, v29                                      // 0000000088F4: D29C001D 00023A80
	v_add_i32 v29, s59, v29                                    // 0000000088FC: D29C001D 00023A3B
	v_sub_i32 v29, v29, v28                                    // 000000008904: D29D001D 0002391D
	v_cmp_ge_i32_e64 vcc, v29, s98                             // 00000000890C: D0C6006A 0000C51D
	v_sub_i32 v29, 0, v29                                      // 000000008914: D29D001D 00023A80
	v_cndmask_b32_e32 v52, v52, v151, vcc                      // 00000000891C: 00692F34
	v_cmp_ge_i32_e64 vcc, v29, s97                             // 000000008920: D0C6006A 0000C31D
	s_nop 1                                                    // 000000008928: BF800001
	v_cndmask_b32_e32 v52, v52, v151, vcc                      // 00000000892C: 00692F34
	v_and_b32_e32 v28, 15, v0                                  // 000000008930: 2638008F
	v_add_u32_e32 v28, s62, v28                                // 000000008934: 6838383E
	v_lshrrev_b32_e32 v29, 4, v0                               // 000000008938: 203A0084
	v_lshlrev_b32_e32 v29, 2, v29                              // 00000000893C: 243A3A82
	v_add_i32 v29, 1, v29                                      // 000000008940: D29C001D 00023A81
	v_add_i32 v29, s59, v29                                    // 000000008948: D29C001D 00023A3B
	v_sub_i32 v29, v29, v28                                    // 000000008950: D29D001D 0002391D
	v_cmp_ge_i32_e64 vcc, v29, s98                             // 000000008958: D0C6006A 0000C51D
	v_sub_i32 v29, 0, v29                                      // 000000008960: D29D001D 00023A80
	v_cndmask_b32_e32 v53, v53, v151, vcc                      // 000000008968: 006B2F35
	v_cmp_ge_i32_e64 vcc, v29, s97                             // 00000000896C: D0C6006A 0000C31D
	s_nop 1                                                    // 000000008974: BF800001
	v_cndmask_b32_e32 v53, v53, v151, vcc                      // 000000008978: 006B2F35
	v_and_b32_e32 v28, 15, v0                                  // 00000000897C: 2638008F
	v_add_u32_e32 v28, s62, v28                                // 000000008980: 6838383E
	v_lshrrev_b32_e32 v29, 4, v0                               // 000000008984: 203A0084
	v_lshlrev_b32_e32 v29, 2, v29                              // 000000008988: 243A3A82
	v_add_i32 v29, 2, v29                                      // 00000000898C: D29C001D 00023A82
	v_add_i32 v29, s59, v29                                    // 000000008994: D29C001D 00023A3B
	v_sub_i32 v29, v29, v28                                    // 00000000899C: D29D001D 0002391D
	v_cmp_ge_i32_e64 vcc, v29, s98                             // 0000000089A4: D0C6006A 0000C51D
	v_sub_i32 v29, 0, v29                                      // 0000000089AC: D29D001D 00023A80
	v_cndmask_b32_e32 v54, v54, v151, vcc                      // 0000000089B4: 006D2F36
	v_cmp_ge_i32_e64 vcc, v29, s97                             // 0000000089B8: D0C6006A 0000C31D
	s_nop 1                                                    // 0000000089C0: BF800001
	v_cndmask_b32_e32 v54, v54, v151, vcc                      // 0000000089C4: 006D2F36
	v_and_b32_e32 v28, 15, v0                                  // 0000000089C8: 2638008F
	v_add_u32_e32 v28, s62, v28                                // 0000000089CC: 6838383E
	v_lshrrev_b32_e32 v29, 4, v0                               // 0000000089D0: 203A0084
	v_lshlrev_b32_e32 v29, 2, v29                              // 0000000089D4: 243A3A82
	v_add_i32 v29, 3, v29                                      // 0000000089D8: D29C001D 00023A83
	v_add_i32 v29, s59, v29                                    // 0000000089E0: D29C001D 00023A3B
	v_sub_i32 v29, v29, v28                                    // 0000000089E8: D29D001D 0002391D
	v_cmp_ge_i32_e64 vcc, v29, s98                             // 0000000089F0: D0C6006A 0000C51D
	v_sub_i32 v29, 0, v29                                      // 0000000089F8: D29D001D 00023A80
	v_cndmask_b32_e32 v55, v55, v151, vcc                      // 000000008A00: 006F2F37
	v_cmp_ge_i32_e64 vcc, v29, s97                             // 000000008A04: D0C6006A 0000C31D
	s_nop 1                                                    // 000000008A0C: BF800001
	v_cndmask_b32_e32 v55, v55, v151, vcc                      // 000000008A10: 006F2F37
	s_branch label_125C                                        // 000000008A14: BF82FF4A

0000000000008a18 <label_1313>:
	v_mov_b32_e32 v52, v151                                    // 000000008A18: 7E680397
	v_mov_b32_e32 v53, v151                                    // 000000008A1C: 7E6A0397
	v_mov_b32_e32 v54, v151                                    // 000000008A20: 7E6C0397
	v_mov_b32_e32 v55, v151                                    // 000000008A24: 7E6E0397
	s_branch label_125C                                        // 000000008A28: BF82FF45

0000000000008a2c <label_1318>:
	v_and_b32_e32 v28, 15, v0                                  // 000000008A2C: 2638008F
	v_add_u32_e32 v28, s62, v28                                // 000000008A30: 6838383E
	v_lshrrev_b32_e32 v29, 4, v0                               // 000000008A34: 203A0084
	v_lshlrev_b32_e32 v29, 2, v29                              // 000000008A38: 243A3A82
	v_add_i32 v29, 0, v29                                      // 000000008A3C: D29C001D 00023A80
	v_add_i32 v29, s59, v29                                    // 000000008A44: D29C001D 00023A3B
	v_sub_i32 v29, v29, v28                                    // 000000008A4C: D29D001D 0002391D
	v_cmp_ge_i32_e64 vcc, v29, s98                             // 000000008A54: D0C6006A 0000C51D
	v_sub_i32 v29, 0, v29                                      // 000000008A5C: D29D001D 00023A80
	v_cndmask_b32_e32 v56, v56, v151, vcc                      // 000000008A64: 00712F38
	v_cmp_ge_i32_e64 vcc, v29, s97                             // 000000008A68: D0C6006A 0000C31D
	s_nop 1                                                    // 000000008A70: BF800001
	v_cndmask_b32_e32 v56, v56, v151, vcc                      // 000000008A74: 00712F38
	v_and_b32_e32 v28, 15, v0                                  // 000000008A78: 2638008F
	v_add_u32_e32 v28, s62, v28                                // 000000008A7C: 6838383E
	v_lshrrev_b32_e32 v29, 4, v0                               // 000000008A80: 203A0084
	v_lshlrev_b32_e32 v29, 2, v29                              // 000000008A84: 243A3A82
	v_add_i32 v29, 1, v29                                      // 000000008A88: D29C001D 00023A81
	v_add_i32 v29, s59, v29                                    // 000000008A90: D29C001D 00023A3B
	v_sub_i32 v29, v29, v28                                    // 000000008A98: D29D001D 0002391D
	v_cmp_ge_i32_e64 vcc, v29, s98                             // 000000008AA0: D0C6006A 0000C51D
	v_sub_i32 v29, 0, v29                                      // 000000008AA8: D29D001D 00023A80
	v_cndmask_b32_e32 v57, v57, v151, vcc                      // 000000008AB0: 00732F39
	v_cmp_ge_i32_e64 vcc, v29, s97                             // 000000008AB4: D0C6006A 0000C31D
	s_nop 1                                                    // 000000008ABC: BF800001
	v_cndmask_b32_e32 v57, v57, v151, vcc                      // 000000008AC0: 00732F39
	v_and_b32_e32 v28, 15, v0                                  // 000000008AC4: 2638008F
	v_add_u32_e32 v28, s62, v28                                // 000000008AC8: 6838383E
	v_lshrrev_b32_e32 v29, 4, v0                               // 000000008ACC: 203A0084
	v_lshlrev_b32_e32 v29, 2, v29                              // 000000008AD0: 243A3A82
	v_add_i32 v29, 2, v29                                      // 000000008AD4: D29C001D 00023A82
	v_add_i32 v29, s59, v29                                    // 000000008ADC: D29C001D 00023A3B
	v_sub_i32 v29, v29, v28                                    // 000000008AE4: D29D001D 0002391D
	v_cmp_ge_i32_e64 vcc, v29, s98                             // 000000008AEC: D0C6006A 0000C51D
	v_sub_i32 v29, 0, v29                                      // 000000008AF4: D29D001D 00023A80
	v_cndmask_b32_e32 v58, v58, v151, vcc                      // 000000008AFC: 00752F3A
	v_cmp_ge_i32_e64 vcc, v29, s97                             // 000000008B00: D0C6006A 0000C31D
	s_nop 1                                                    // 000000008B08: BF800001
	v_cndmask_b32_e32 v58, v58, v151, vcc                      // 000000008B0C: 00752F3A
	v_and_b32_e32 v28, 15, v0                                  // 000000008B10: 2638008F
	v_add_u32_e32 v28, s62, v28                                // 000000008B14: 6838383E
	v_lshrrev_b32_e32 v29, 4, v0                               // 000000008B18: 203A0084
	v_lshlrev_b32_e32 v29, 2, v29                              // 000000008B1C: 243A3A82
	v_add_i32 v29, 3, v29                                      // 000000008B20: D29C001D 00023A83
	v_add_i32 v29, s59, v29                                    // 000000008B28: D29C001D 00023A3B
	v_sub_i32 v29, v29, v28                                    // 000000008B30: D29D001D 0002391D
	v_cmp_ge_i32_e64 vcc, v29, s98                             // 000000008B38: D0C6006A 0000C51D
	v_sub_i32 v29, 0, v29                                      // 000000008B40: D29D001D 00023A80
	v_cndmask_b32_e32 v59, v59, v151, vcc                      // 000000008B48: 00772F3B
	v_cmp_ge_i32_e64 vcc, v29, s97                             // 000000008B4C: D0C6006A 0000C31D
	s_nop 1                                                    // 000000008B54: BF800001
	v_cndmask_b32_e32 v59, v59, v151, vcc                      // 000000008B58: 00772F3B
	s_branch label_136A                                        // 000000008B5C: BF820005

0000000000008b60 <label_1365>:
	v_mov_b32_e32 v56, v151                                    // 000000008B60: 7E700397
	v_mov_b32_e32 v57, v151                                    // 000000008B64: 7E720397
	v_mov_b32_e32 v58, v151                                    // 000000008B68: 7E740397
	v_mov_b32_e32 v59, v151                                    // 000000008B6C: 7E760397
	s_branch label_136A                                        // 000000008B70: BF820000

0000000000008b74 <label_136A>:
	s_cmp_lt_i32 s100, 0xc0                                    // 000000008B74: BF04FF64 000000C0
	s_cbranch_scc0 label_13BF                                  // 000000008B7C: BF84004D
	s_cmp_le_i32 s100, 64                                      // 000000008B80: BF05C064
	s_cbranch_scc1 label_1376                                  // 000000008B84: BF850007
	s_cmp_le_i32 s100, 0x80                                    // 000000008B88: BF05FF64 00000080
	s_cbranch_scc1 label_138E                                  // 000000008B90: BF850017
	s_cmp_lt_i32 s100, 0xc0                                    // 000000008B94: BF04FF64 000000C0
	s_cbranch_scc1 label_13A6                                  // 000000008B9C: BF85002C
	s_branch label_13BF                                        // 000000008BA0: BF820044

0000000000008ba4 <label_1376>:
	s_mov_b32 s60, 0                                           // 000000008BA4: BEBC0080
	v_and_b32_e32 v28, 15, v0                                  // 000000008BA8: 2638008F
	v_add_u32_e64 v28, v28, s60                                // 000000008BAC: D134001C 0000791C
	v_mul_i32_i24_e64 v29, s46, 16                             // 000000008BB4: D106001D 0001202E
	v_add_u32_e32 v28, v28, v29                                // 000000008BBC: 68383B1C
	v_cmp_lt_u32_e64 s[60:61], v28, s100                       // 000000008BC0: D0C9003C 0000C91C
	s_nop 1                                                    // 000000008BC8: BF800001
	v_cndmask_b32_e64 v48, v151, v48, s[60:61]                 // 000000008BCC: D1000030 00F26197
	v_cndmask_b32_e64 v49, v151, v49, s[60:61]                 // 000000008BD4: D1000031 00F26397
	v_cndmask_b32_e64 v50, v151, v50, s[60:61]                 // 000000008BDC: D1000032 00F26597
	v_cndmask_b32_e64 v51, v151, v51, s[60:61]                 // 000000008BE4: D1000033 00F26797
	s_branch label_13A1                                        // 000000008BEC: BF820013

0000000000008bf0 <label_138E>:
	s_mov_b32 s60, 64                                          // 000000008BF0: BEBC00C0
	v_and_b32_e32 v28, 15, v0                                  // 000000008BF4: 2638008F
	v_add_u32_e64 v28, v28, s60                                // 000000008BF8: D134001C 0000791C
	v_mul_i32_i24_e64 v29, s46, 16                             // 000000008C00: D106001D 0001202E
	v_add_u32_e32 v28, v28, v29                                // 000000008C08: 68383B1C
	v_cmp_lt_u32_e64 s[60:61], v28, s100                       // 000000008C0C: D0C9003C 0000C91C
	s_nop 1                                                    // 000000008C14: BF800001
	v_cndmask_b32_e64 v52, v151, v52, s[60:61]                 // 000000008C18: D1000034 00F26997
	v_cndmask_b32_e64 v53, v151, v53, s[60:61]                 // 000000008C20: D1000035 00F26B97
	v_cndmask_b32_e64 v54, v151, v54, s[60:61]                 // 000000008C28: D1000036 00F26D97
	v_cndmask_b32_e64 v55, v151, v55, s[60:61]                 // 000000008C30: D1000037 00F26F97
	s_branch label_13BA                                        // 000000008C38: BF820019

0000000000008c3c <label_13A1>:
	v_mov_b32_e32 v52, v151                                    // 000000008C3C: 7E680397
	v_mov_b32_e32 v53, v151                                    // 000000008C40: 7E6A0397
	v_mov_b32_e32 v54, v151                                    // 000000008C44: 7E6C0397
	v_mov_b32_e32 v55, v151                                    // 000000008C48: 7E6E0397
	s_branch label_13BA                                        // 000000008C4C: BF820014

0000000000008c50 <label_13A6>:
	s_mov_b32 s60, 0x80                                        // 000000008C50: BEBC00FF 00000080
	v_and_b32_e32 v28, 15, v0                                  // 000000008C58: 2638008F
	v_add_u32_e64 v28, v28, s60                                // 000000008C5C: D134001C 0000791C
	v_mul_i32_i24_e64 v29, s46, 16                             // 000000008C64: D106001D 0001202E
	v_add_u32_e32 v28, v28, v29                                // 000000008C6C: 68383B1C
	v_cmp_lt_u32_e64 s[60:61], v28, s100                       // 000000008C70: D0C9003C 0000C91C
	s_nop 1                                                    // 000000008C78: BF800001
	v_cndmask_b32_e64 v56, v151, v56, s[60:61]                 // 000000008C7C: D1000038 00F27197
	v_cndmask_b32_e64 v57, v151, v57, s[60:61]                 // 000000008C84: D1000039 00F27397
	v_cndmask_b32_e64 v58, v151, v58, s[60:61]                 // 000000008C8C: D100003A 00F27597
	v_cndmask_b32_e64 v59, v151, v59, s[60:61]                 // 000000008C94: D100003B 00F27797
	s_branch label_13BF                                        // 000000008C9C: BF820005

0000000000008ca0 <label_13BA>:
	v_mov_b32_e32 v56, v151                                    // 000000008CA0: 7E700397
	v_mov_b32_e32 v57, v151                                    // 000000008CA4: 7E720397
	v_mov_b32_e32 v58, v151                                    // 000000008CA8: 7E740397
	v_mov_b32_e32 v59, v151                                    // 000000008CAC: 7E760397
	s_branch label_13BF                                        // 000000008CB0: BF820000

0000000000008cb4 <label_13BF>:
	s_waitcnt lgkmcnt(8)                                       // 000000008CB4: BF8CC87F
	s_barrier                                                  // 000000008CB8: BF8A0000
	v_mfma_f32_16x16x16_f16 v[72:75], v[92:93], a[96:97], 0    // 000000008CBC: D3CD0048 1202C15C
	v_fma_f32 v48, v48, s57, -v124                             // 000000008CC4: D1CB0030 85F07330
	v_fma_f32 v49, v49, s57, -v125                             // 000000008CCC: D1CB0031 85F47331
	v_fma_f32 v50, v50, s57, -v126                             // 000000008CD4: D1CB0032 85F87332
	v_mfma_f32_16x16x16_f16 v[72:75], v[94:95], a[98:99], v[72:75]// 000000008CDC: D3CD0048 1522C55E
	ds_read_b128 a[144:147], v12 offset:4352                   // 000000008CE4: DBFE1100 9000000C
	ds_read_b128 a[148:151], v12 offset:4864                   // 000000008CEC: DBFE1300 9400000C
	v_mfma_f32_16x16x16_f16 v[72:75], v[96:97], a[100:101], v[72:75]// 000000008CF4: D3CD0048 1522C960
	v_fma_f32 v51, v51, s57, -v127                             // 000000008CFC: D1CB0033 85FC7333
	v_fma_f32 v52, v52, s57, -v124                             // 000000008D04: D1CB0034 85F07334
	v_fma_f32 v53, v53, s57, -v125                             // 000000008D0C: D1CB0035 85F47335
	v_mfma_f32_16x16x16_f16 v[72:75], v[98:99], a[102:103], v[72:75]// 000000008D14: D3CD0048 1522CD62
	v_fma_f32 v54, v54, s57, -v126                             // 000000008D1C: D1CB0036 85F87336
	v_fma_f32 v55, v55, s57, -v127                             // 000000008D24: D1CB0037 85FC7337
	v_fma_f32 v56, v56, s57, -v124                             // 000000008D2C: D1CB0038 85F07338
	v_mfma_f32_16x16x16_f16 v[72:75], v[100:101], a[104:105], v[72:75]// 000000008D34: D3CD0048 1522D164
	v_fma_f32 v57, v57, s57, -v125                             // 000000008D3C: D1CB0039 85F47339
	v_fma_f32 v58, v58, s57, -v126                             // 000000008D44: D1CB003A 85F8733A
	v_fma_f32 v59, v59, s57, -v127                             // 000000008D4C: D1CB003B 85FC733B
	v_mfma_f32_16x16x16_f16 v[72:75], v[102:103], a[106:107], v[72:75]// 000000008D54: D3CD0048 1522D566
	ds_read_b128 a[152:155], v12 offset:6528                   // 000000008D5C: DBFE1980 9800000C
	ds_read_b128 a[156:159], v12 offset:7040                   // 000000008D64: DBFE1B80 9C00000C
	v_mfma_f32_16x16x16_f16 v[72:75], v[104:105], a[108:109], v[72:75]// 000000008D6C: D3CD0048 1522D968
	v_exp_f32_e32 v48, v48                                     // 000000008D74: 7E604130
	v_mfma_f32_16x16x16_f16 v[72:75], v[106:107], a[110:111], v[72:75]// 000000008D78: D3CD0048 1522DD6A
	v_exp_f32_e32 v49, v49                                     // 000000008D80: 7E624131
	v_mfma_f32_16x16x16_f16 v[76:79], v[92:93], a[112:113], 0  // 000000008D84: D3CD004C 1202E15C
	v_exp_f32_e32 v50, v50                                     // 000000008D8C: 7E644132
	v_mfma_f32_16x16x16_f16 v[76:79], v[94:95], a[114:115], v[76:79]// 000000008D90: D3CD004C 1532E55E
	ds_read_b64 v[136:137], v19 offset:24320                   // 000000008D98: D8EC5F00 88000013
	ds_read_b64 v[138:139], v19 offset:26368                   // 000000008DA0: D8EC6700 8A000013
	v_mfma_f32_16x16x16_f16 v[76:79], v[96:97], a[116:117], v[76:79]// 000000008DA8: D3CD004C 1532E960
	v_exp_f32_e32 v51, v51                                     // 000000008DB0: 7E664133
	v_mfma_f32_16x16x16_f16 v[76:79], v[98:99], a[118:119], v[76:79]// 000000008DB4: D3CD004C 1532ED62
	ds_read_b64 v[140:141], v19 offset:28416                   // 000000008DBC: D8EC6F00 8C000013
	ds_read_b64 v[142:143], v19 offset:30464                   // 000000008DC4: D8EC7700 8E000013
	v_mfma_f32_16x16x16_f16 v[76:79], v[100:101], a[120:121], v[76:79]// 000000008DCC: D3CD004C 1532F164
	v_exp_f32_e32 v52, v52                                     // 000000008DD4: 7E684134
	v_mfma_f32_16x16x16_f16 v[76:79], v[102:103], a[122:123], v[76:79]// 000000008DD8: D3CD004C 1532F566
	v_exp_f32_e32 v53, v53                                     // 000000008DE0: 7E6A4135
	v_mfma_f32_16x16x16_f16 v[76:79], v[104:105], a[124:125], v[76:79]// 000000008DE4: D3CD004C 1532F968
	v_exp_f32_e32 v54, v54                                     // 000000008DEC: 7E6C4136
	v_mfma_f32_16x16x16_f16 v[76:79], v[106:107], a[126:127], v[76:79]// 000000008DF0: D3CD004C 1532FD6A
	v_exp_f32_e32 v55, v55                                     // 000000008DF8: 7E6E4137
	v_mfma_f32_16x16x16_f16 v[80:83], v[92:93], a[128:129], 0  // 000000008DFC: D3CD0050 1203015C
	v_exp_f32_e32 v56, v56                                     // 000000008E04: 7E704138
	v_mfma_f32_16x16x16_f16 v[80:83], v[94:95], a[130:131], v[80:83]// 000000008E08: D3CD0050 1543055E
	v_exp_f32_e32 v57, v57                                     // 000000008E10: 7E724139
	v_mfma_f32_16x16x16_f16 v[80:83], v[96:97], a[132:133], v[80:83]// 000000008E14: D3CD0050 15430960
	v_exp_f32_e32 v58, v58                                     // 000000008E1C: 7E74413A
	v_mfma_f32_16x16x16_f16 v[80:83], v[98:99], a[134:135], v[80:83]// 000000008E20: D3CD0050 15430D62
	v_exp_f32_e32 v59, v59                                     // 000000008E28: 7E76413B
	v_mfma_f32_16x16x16_f16 v[80:83], v[100:101], a[136:137], v[80:83]// 000000008E2C: D3CD0050 15431164
	v_cvt_pkrtz_f16_f32 v144, v48, v49                         // 000000008E34: D2960090 00026330
	v_cvt_pkrtz_f16_f32 v145, v50, v51                         // 000000008E3C: D2960091 00026732
	v_cvt_pkrtz_f16_f32 v146, v52, v53                         // 000000008E44: D2960092 00026B34
	v_mfma_f32_16x16x16_f16 v[80:83], v[102:103], a[138:139], v[80:83]// 000000008E4C: D3CD0050 15431566
	v_cvt_pkrtz_f16_f32 v147, v54, v55                         // 000000008E54: D2960093 00026F36
	v_cvt_pkrtz_f16_f32 v148, v56, v57                         // 000000008E5C: D2960094 00027338
	v_cvt_pkrtz_f16_f32 v149, v58, v59                         // 000000008E64: D2960095 0002773A
	v_mfma_f32_16x16x16_f16 v[80:83], v[104:105], a[140:141], v[80:83]// 000000008E6C: D3CD0050 15431968
	v_add_u32_e32 v7, s66, v7                                  // 000000008E74: 680E0E42
	v_add_u32_e32 v8, s66, v8                                  // 000000008E78: 68101042
	v_mfma_f32_16x16x16_f16 v[80:83], v[106:107], a[142:143], v[80:83]// 000000008E7C: D3CD0050 15431D6A
	s_waitcnt lgkmcnt(0)                                       // 000000008E84: BF8CC07F
	s_barrier                                                  // 000000008E88: BF8A0000
	v_mfma_f32_16x16x16_f16 v[152:155], v[108:109], v[144:145], v[152:155]// 000000008E8C: D3CD0098 0663216C
	v_subrev_f32_dpp v72, v150, v72 quad_perm:[0,0,0,0] row_mask:0xf bank_mask:0xf// 000000008E94: 069090FA FF000096
	v_subrev_f32_dpp v73, v150, v73 quad_perm:[1,1,1,1] row_mask:0xf bank_mask:0xf// 000000008E9C: 069292FA FF005596
	v_subrev_f32_dpp v74, v150, v74 quad_perm:[2,2,2,2] row_mask:0xf bank_mask:0xf// 000000008EA4: 069494FA FF00AA96
	v_mfma_f32_16x16x16_f16 v[156:159], v[110:111], v[144:145], v[156:159]// 000000008EAC: D3CD009C 0673216E
	v_subrev_f32_dpp v75, v150, v75 quad_perm:[3,3,3,3] row_mask:0xf bank_mask:0xf// 000000008EB4: 069696FA FF00FF96
	v_subrev_f32_dpp v76, v150, v76 quad_perm:[0,0,0,0] row_mask:0xf bank_mask:0xf// 000000008EBC: 069898FA FF000096
	v_subrev_f32_dpp v77, v150, v77 quad_perm:[1,1,1,1] row_mask:0xf bank_mask:0xf// 000000008EC4: 069A9AFA FF005596
	v_mfma_f32_16x16x16_f16 v[160:163], v[112:113], v[144:145], v[160:163]// 000000008ECC: D3CD00A0 06832170
	v_mul_f32_e32 v72, v48, v72                                // 000000008ED4: 0A909130
	v_mul_f32_e32 v73, v49, v73                                // 000000008ED8: 0A929331
	v_mul_f32_e32 v74, v50, v74                                // 000000008EDC: 0A949532
	v_mfma_f32_16x16x16_f16 v[164:167], v[114:115], v[144:145], v[164:167]// 000000008EE0: D3CD00A4 06932172
	v_mul_f32_e32 v75, v51, v75                                // 000000008EE8: 0A969733
	v_mul_f32_e32 v76, v52, v76                                // 000000008EEC: 0A989934
	v_mul_f32_e32 v77, v53, v77                                // 000000008EF0: 0A9A9B35
	v_mfma_f32_16x16x16_f16 v[168:171], v[116:117], v[144:145], v[168:171]// 000000008EF4: D3CD00A8 06A32174
	v_cvt_pkrtz_f16_f32 v72, v72, v73                          // 000000008EFC: D2960048 00029348
	v_cvt_pkrtz_f16_f32 v73, v74, v75                          // 000000008F04: D2960049 0002974A
	v_cvt_pkrtz_f16_f32 v74, v76, v77                          // 000000008F0C: D296004A 00029B4C
	v_mfma_f32_16x16x16_f16 v[172:175], v[118:119], v[144:145], v[172:175]// 000000008F14: D3CD00AC 06B32176
	v_mov_b32_dpp v16, v72 quad_perm:[1,0,3,2] row_mask:0xf bank_mask:0xf// 000000008F1C: 7E2002FA FF00B148
	v_perm_b32 v48, v16, v72, v15                              // 000000008F24: D1ED0030 043E9110
	v_mov_b32_dpp v16, v73 quad_perm:[1,0,3,2] row_mask:0xf bank_mask:0xf// 000000008F2C: 7E2002FA FF00B149
	v_mfma_f32_16x16x16_f16 v[176:179], v[120:121], v[144:145], v[176:179]// 000000008F34: D3CD00B0 06C32178
	ds_write_b32 v18, v48 offset:17408                         // 000000008F3C: D81A4400 00003012
	v_mfma_f32_16x16x16_f16 v[180:183], v[122:123], v[144:145], v[180:183]// 000000008F44: D3CD00B4 06D3217A
	v_perm_b32 v49, v16, v73, v15                              // 000000008F4C: D1ED0031 043E9310
	v_mov_b32_dpp v16, v74 quad_perm:[1,0,3,2] row_mask:0xf bank_mask:0xf// 000000008F54: 7E2002FA FF00B14A
	v_perm_b32 v50, v16, v74, v15                              // 000000008F5C: D1ED0032 043E9510
	v_mfma_f32_16x16x16_f16 v[184:187], v[108:109], v[146:147], v[184:187]// 000000008F64: D3CD00B8 06E3256C
	ds_write_b32 v18, v49 offset:17952                         // 000000008F6C: D81A4620 00003112
	v_mfma_f32_16x16x16_f16 v[188:191], v[110:111], v[146:147], v[188:191]// 000000008F74: D3CD00BC 06F3256E
	v_subrev_f32_dpp v78, v150, v78 quad_perm:[2,2,2,2] row_mask:0xf bank_mask:0xf// 000000008F7C: 069C9CFA FF00AA96
	v_subrev_f32_dpp v79, v150, v79 quad_perm:[3,3,3,3] row_mask:0xf bank_mask:0xf// 000000008F84: 069E9EFA FF00FF96
	v_subrev_f32_dpp v80, v150, v80 quad_perm:[0,0,0,0] row_mask:0xf bank_mask:0xf// 000000008F8C: 06A0A0FA FF000096
	v_mfma_f32_16x16x16_f16 v[192:195], v[112:113], v[146:147], v[192:195]// 000000008F94: D3CD00C0 07032570
	ds_write_b32 v18, v50 offset:19712                         // 000000008F9C: D81A4D00 00003212
	v_mfma_f32_16x16x16_f16 v[196:199], v[114:115], v[146:147], v[196:199]// 000000008FA4: D3CD00C4 07132572
	v_subrev_f32_dpp v81, v150, v81 quad_perm:[1,1,1,1] row_mask:0xf bank_mask:0xf// 000000008FAC: 06A2A2FA FF005596
	v_subrev_f32_dpp v82, v150, v82 quad_perm:[2,2,2,2] row_mask:0xf bank_mask:0xf// 000000008FB4: 06A4A4FA FF00AA96
	v_subrev_f32_dpp v83, v150, v83 quad_perm:[3,3,3,3] row_mask:0xf bank_mask:0xf// 000000008FBC: 06A6A6FA FF00FF96
	v_mfma_f32_16x16x16_f16 v[200:203], v[116:117], v[146:147], v[200:203]// 000000008FC4: D3CD00C8 07232574
	v_mul_f32_e32 v78, v54, v78                                // 000000008FCC: 0A9C9D36
	v_mul_f32_e32 v79, v55, v79                                // 000000008FD0: 0A9E9F37
	v_mul_f32_e32 v80, v56, v80                                // 000000008FD4: 0AA0A138
	v_mfma_f32_16x16x16_f16 v[204:207], v[118:119], v[146:147], v[204:207]// 000000008FD8: D3CD00CC 07332576
	v_mul_f32_e32 v81, v57, v81                                // 000000008FE0: 0AA2A339
	v_mul_f32_e32 v82, v58, v82                                // 000000008FE4: 0AA4A53A
	v_mul_f32_e32 v83, v59, v83                                // 000000008FE8: 0AA6A73B
	v_mfma_f32_16x16x16_f16 v[208:211], v[120:121], v[146:147], v[208:211]// 000000008FEC: D3CD00D0 07432578
	v_cvt_pkrtz_f16_f32 v75, v78, v79                          // 000000008FF4: D296004B 00029F4E
	v_cvt_pkrtz_f16_f32 v76, v80, v81                          // 000000008FFC: D296004C 0002A350
	v_cvt_pkrtz_f16_f32 v77, v82, v83                          // 000000009004: D296004D 0002A752
	v_mfma_f32_16x16x16_f16 v[212:215], v[122:123], v[146:147], v[212:215]// 00000000900C: D3CD00D4 0753257A
	v_mov_b32_dpp v16, v75 quad_perm:[1,0,3,2] row_mask:0xf bank_mask:0xf// 000000009014: 7E2002FA FF00B14B
	v_perm_b32 v51, v16, v75, v15                              // 00000000901C: D1ED0033 043E9710
	v_mov_b32_dpp v16, v76 quad_perm:[1,0,3,2] row_mask:0xf bank_mask:0xf// 000000009024: 7E2002FA FF00B14C
	v_mfma_f32_16x16x16_f16 v[216:219], v[108:109], v[148:149], v[216:219]// 00000000902C: D3CD00D8 0763296C
	ds_write_b32 v18, v51 offset:20256                         // 000000009034: D81A4F20 00003312
	v_mfma_f32_16x16x16_f16 v[220:223], v[110:111], v[148:149], v[220:223]// 00000000903C: D3CD00DC 0773296E
	v_perm_b32 v52, v16, v76, v15                              // 000000009044: D1ED0034 043E9910
	v_mov_b32_dpp v16, v77 quad_perm:[1,0,3,2] row_mask:0xf bank_mask:0xf// 00000000904C: 7E2002FA FF00B14D
	v_perm_b32 v53, v16, v77, v15                              // 000000009054: D1ED0035 043E9B10
	v_mfma_f32_16x16x16_f16 v[224:227], v[112:113], v[148:149], v[224:227]// 00000000905C: D3CD00E0 07832970
	ds_write_b32 v18, v52 offset:22016                         // 000000009064: D81A5600 00003412
	ds_write_b32 v18, v53 offset:22560                         // 00000000906C: D81A5820 00003512
	v_mfma_f32_16x16x16_f16 v[228:231], v[114:115], v[148:149], v[228:231]// 000000009074: D3CD00E4 07932972
	v_mfma_f32_16x16x16_f16 v[232:235], v[116:117], v[148:149], v[232:235]// 00000000907C: D3CD00E8 07A32974
	ds_write_b32 v13, v84 offset:4352                          // 000000009084: D81A1100 0000540D
	ds_write_b32 v13, v85 offset:5408                          // 00000000908C: D81A1520 0000550D
	v_mfma_f32_16x16x16_f16 v[236:239], v[118:119], v[148:149], v[236:239]// 000000009094: D3CD00EC 07B32976
	v_mfma_f32_16x16x16_f16 v[240:243], v[120:121], v[148:149], v[240:243]// 00000000909C: D3CD00F0 07C32978
	ds_write_b32 v13, v86 offset:4480                          // 0000000090A4: D81A1180 0000560D
	ds_write_b32 v13, v87 offset:5536                          // 0000000090AC: D81A15A0 0000570D
	v_mfma_f32_16x16x16_f16 v[244:247], v[122:123], v[148:149], v[244:247]// 0000000090B4: D3CD00F4 07D3297A
	s_nop 0                                                    // 0000000090BC: BF800000
	s_nop 0                                                    // 0000000090C0: BF800000
	s_nop 0                                                    // 0000000090C4: BF800000
	s_barrier                                                  // 0000000090C8: BF8A0000
	v_mfma_f32_16x16x16_f16 a[160:163], a[144:145], v[72:73], a[160:163]// 0000000090CC: D3CD80A0 0E829190
	ds_read_b32 v124, v21 offset:51200                         // 0000000090D4: D86CC800 7C000015
	ds_read_b32 v150, v21 offset:51456                         // 0000000090DC: D86CC900 96000015
	v_mfma_f32_16x16x16_f16 a[164:167], a[146:147], v[72:73], a[164:167]// 0000000090E4: D3CD80A4 0E929192
	buffer_atomic_add_f32 v136, v7, s[32:35], 0 offen          // 0000000090EC: E1341000 80088807
	v_mfma_f32_16x16x16_f16 a[168:171], a[148:149], v[72:73], a[168:171]// 0000000090F4: D3CD80A8 0EA29194
	s_waitcnt lgkmcnt(6)                                       // 0000000090FC: BF8CC67F
	s_barrier                                                  // 000000009100: BF8A0000
	v_mfma_f32_16x16x16_f16 a[172:175], a[150:151], v[72:73], a[172:175]// 000000009104: D3CD80AC 0EB29196
	v_mfma_f32_16x16x16_f16 a[176:179], a[152:153], v[72:73], a[176:179]// 00000000910C: D3CD80B0 0EC29198
	ds_read_b128 v[48:51], v17 offset:17408                    // 000000009114: D9FE4400 30000011
	v_mfma_f32_16x16x16_f16 a[180:183], a[154:155], v[72:73], a[180:183]// 00000000911C: D3CD80B4 0ED2919A
	v_mfma_f32_16x16x16_f16 a[184:187], a[156:157], v[72:73], a[184:187]// 000000009124: D3CD80B8 0EE2919C
	ds_read_b128 v[52:55], v17 offset:18560                    // 00000000912C: D9FE4880 34000011
	v_mfma_f32_16x16x16_f16 a[188:191], a[158:159], v[72:73], a[188:191]// 000000009134: D3CD80BC 0EF2919E
	buffer_atomic_add_f32 v137, v8, s[32:35], 0 offen          // 00000000913C: E1341000 80088908
	v_mfma_f32_16x16x16_f16 a[192:195], a[144:145], v[74:75], a[192:195]// 000000009144: D3CD80C0 0F029590
	ds_read_b128 v[56:59], v17 offset:19712                    // 00000000914C: D9FE4D00 38000011
	v_mfma_f32_16x16x16_f16 a[196:199], a[146:147], v[74:75], a[196:199]// 000000009154: D3CD80C4 0F129592
	v_mfma_f32_16x16x16_f16 a[200:203], a[148:149], v[74:75], a[200:203]// 00000000915C: D3CD80C8 0F229594
	ds_read_b128 v[60:63], v17 offset:20864                    // 000000009164: D9FE5180 3C000011
	v_mfma_f32_16x16x16_f16 a[204:207], a[150:151], v[74:75], a[204:207]// 00000000916C: D3CD80CC 0F329596
	v_mfma_f32_16x16x16_f16 a[208:211], a[152:153], v[74:75], a[208:211]// 000000009174: D3CD80D0 0F429598
	ds_read_b128 v[64:67], v17 offset:22016                    // 00000000917C: D9FE5600 40000011
	v_mfma_f32_16x16x16_f16 a[212:215], a[154:155], v[74:75], a[212:215]// 000000009184: D3CD80D4 0F52959A
	buffer_atomic_add_f32 v138, v7, s[32:35], 0 offen offset:128// 00000000918C: E1341080 80088A07
	v_mfma_f32_16x16x16_f16 a[216:219], a[156:157], v[74:75], a[216:219]// 000000009194: D3CD80D8 0F62959C
	ds_read_b128 v[68:71], v17 offset:23168                    // 00000000919C: D9FE5A80 44000011
	v_mfma_f32_16x16x16_f16 a[220:223], a[158:159], v[74:75], a[220:223]// 0000000091A4: D3CD80DC 0F72959E
	v_mfma_f32_16x16x16_f16 a[224:227], a[144:145], v[76:77], a[224:227]// 0000000091AC: D3CD80E0 0F829990
	ds_write_b32 v13, v88 offset:13056                         // 0000000091B4: D81A3300 0000580D
	v_mfma_f32_16x16x16_f16 a[228:231], a[146:147], v[76:77], a[228:231]// 0000000091BC: D3CD80E4 0F929992
	v_mfma_f32_16x16x16_f16 a[232:235], a[148:149], v[76:77], a[232:235]// 0000000091C4: D3CD80E8 0FA29994
	ds_write_b32 v13, v89 offset:14112                         // 0000000091CC: D81A3720 0000590D
	v_mfma_f32_16x16x16_f16 a[236:239], a[150:151], v[76:77], a[236:239]// 0000000091D4: D3CD80EC 0FB29996
	buffer_atomic_add_f32 v139, v8, s[32:35], 0 offen offset:128// 0000000091DC: E1341080 80088B08
	v_mfma_f32_16x16x16_f16 a[240:243], a[152:153], v[76:77], a[240:243]// 0000000091E4: D3CD80F0 0FC29998
	ds_write_b32 v13, v90 offset:13184                         // 0000000091EC: D81A3380 00005A0D
	v_mfma_f32_16x16x16_f16 a[244:247], a[154:155], v[76:77], a[244:247]// 0000000091F4: D3CD80F4 0FD2999A
	v_mfma_f32_16x16x16_f16 a[248:251], a[156:157], v[76:77], a[248:251]// 0000000091FC: D3CD80F8 0FE2999C
	ds_write_b32 v13, v91 offset:14240                         // 000000009204: D81A37A0 00005B0D
	v_mfma_f32_16x16x16_f16 a[252:255], a[158:159], v[76:77], a[252:255]// 00000000920C: D3CD80FC 0FF2999E
	s_waitcnt vmcnt(8) lgkmcnt(4)                              // 000000009214: BF8C0478
	s_barrier                                                  // 000000009218: BF8A0000
	v_mfma_f32_16x16x16_f16 v[128:131], v[48:49], a[48:49], 0  // 00000000921C: D3CD0080 12026130
	ds_read_b128 a[144:147], v10                               // 000000009224: DBFE0000 9000000A
	v_mov_b32_e32 v36, 0                                       // 00000000922C: 7E480280
	s_mov_b64 exec, s[86:87]                                   // 000000009230: BEFE0156
	buffer_load_dword v36, v1, s[8:11], 0 idxen                // 000000009234: E0502000 80022401
	s_mov_b64 exec, s[84:85]                                   // 00000000923C: BEFE0154
	v_mfma_f32_16x16x16_f16 v[128:131], v[50:51], a[52:53], v[128:131]// 000000009240: D3CD0080 16026932
	v_cmp_eq_u32_e32 vcc, v124, v151                           // 000000009248: 7D952F7C
	v_mov_b32_e32 v28, 0                                       // 00000000924C: 7E380280
	v_cndmask_b32_e32 v124, v124, v28, vcc                     // 000000009250: 00F8397C
	v_mul_f32_e32 v124, s48, v124                              // 000000009254: 0AF8F830
	s_nop 0                                                    // 000000009258: BF800000
	v_mfma_f32_16x16x16_f16 v[128:131], v[52:53], a[56:57], v[128:131]// 00000000925C: D3CD0080 16027134
	ds_read_b128 a[148:151], v10 offset:512                    // 000000009264: DBFE0200 9400000A
	v_mov_b32_e32 v37, 0                                       // 00000000926C: 7E4A0280
	s_mov_b64 exec, s[86:87]                                   // 000000009270: BEFE0156
	buffer_load_dword v37, v2, s[8:11], 0 idxen                // 000000009274: E0502000 80022502
	s_mov_b64 exec, s[84:85]                                   // 00000000927C: BEFE0154
	v_mfma_f32_16x16x16_f16 v[128:131], v[54:55], a[60:61], v[128:131]// 000000009280: D3CD0080 16027936
	v_mfma_f32_16x16x16_f16 v[128:131], v[56:57], a[64:65], v[128:131]// 000000009288: D3CD0080 16028138
	ds_read_b128 a[152:155], v10 offset:2176                   // 000000009290: DBFE0880 9800000A
	v_mov_b32_e32 v38, 0                                       // 000000009298: 7E4C0280
	s_mov_b64 exec, s[86:87]                                   // 00000000929C: BEFE0156
	buffer_load_dword v38, v3, s[8:11], 0 idxen                // 0000000092A0: E0502000 80022603
	s_mov_b64 exec, s[84:85]                                   // 0000000092A8: BEFE0154
	v_mfma_f32_16x16x16_f16 v[128:131], v[58:59], a[68:69], v[128:131]// 0000000092AC: D3CD0080 1602893A
	v_perm_b32 v84, v33, v32, s63                              // 0000000092B4: D1ED0054 00FE4121
	v_perm_b32 v85, v33, v32, s64                              // 0000000092BC: D1ED0055 01024121
	v_mfma_f32_16x16x16_f16 v[128:131], v[60:61], a[72:73], v[128:131]// 0000000092C4: D3CD0080 1602913C
	ds_read_b128 a[156:159], v10 offset:2688                   // 0000000092CC: DBFE0A80 9C00000A
	v_mov_b32_e32 v39, 0                                       // 0000000092D4: 7E4E0280
	s_mov_b64 exec, s[86:87]                                   // 0000000092D8: BEFE0156
	buffer_load_dword v39, v4, s[8:11], 0 idxen                // 0000000092DC: E0502000 80022704
	s_mov_b64 exec, s[84:85]                                   // 0000000092E4: BEFE0154
	v_mfma_f32_16x16x16_f16 v[128:131], v[62:63], a[76:77], v[128:131]// 0000000092E8: D3CD0080 1602993E
	v_perm_b32 v86, v35, v34, s63                              // 0000000092F0: D1ED0056 00FE4523
	v_perm_b32 v87, v35, v34, s64                              // 0000000092F8: D1ED0057 01024523
	v_mfma_f32_16x16x16_f16 v[128:131], v[64:65], a[80:81], v[128:131]// 000000009300: D3CD0080 1602A140
	ds_read_b128 v[92:95], v10 offset:8704                     // 000000009308: D9FE2200 5C00000A
	v_mov_b32_e32 v44, 0                                       // 000000009310: 7E580280
	s_mov_b64 exec, s[86:87]                                   // 000000009314: BEFE0156
	buffer_load_dword v44, v248, s[20:23], 0 idxen             // 000000009318: E0502000 80052CF8
	s_mov_b64 exec, s[84:85]                                   // 000000009320: BEFE0154
	v_mfma_f32_16x16x16_f16 v[128:131], v[66:67], a[84:85], v[128:131]// 000000009324: D3CD0080 1602A942
	v_perm_b32 v88, v41, v40, s63                              // 00000000932C: D1ED0058 00FE5129
	v_perm_b32 v89, v41, v40, s64                              // 000000009334: D1ED0059 01025129
	v_mfma_f32_16x16x16_f16 v[128:131], v[68:69], a[88:89], v[128:131]// 00000000933C: D3CD0080 1602B144
	ds_read_b128 v[96:99], v10 offset:9216                     // 000000009344: D9FE2400 6000000A
	v_mov_b32_e32 v45, 0                                       // 00000000934C: 7E5A0280
	s_mov_b64 exec, s[86:87]                                   // 000000009350: BEFE0156
	buffer_load_dword v45, v249, s[20:23], 0 idxen             // 000000009354: E0502000 80052DF9
	s_mov_b64 exec, s[84:85]                                   // 00000000935C: BEFE0154
	v_mfma_f32_16x16x16_f16 v[128:131], v[70:71], a[92:93], v[128:131]// 000000009360: D3CD0080 1602B946
	v_perm_b32 v90, v43, v42, s63                              // 000000009368: D1ED005A 00FE552B
	v_perm_b32 v91, v43, v42, s64                              // 000000009370: D1ED005B 0102552B
	v_mfma_f32_16x16x16_f16 v[132:135], v[48:49], a[50:51], 0  // 000000009378: D3CD0084 12026530
	ds_read_b128 v[100:103], v10 offset:10880                  // 000000009380: D9FE2A80 6400000A
	v_mov_b32_e32 v46, 0                                       // 000000009388: 7E5C0280
	s_mov_b64 exec, s[86:87]                                   // 00000000938C: BEFE0156
	buffer_load_dword v46, v250, s[20:23], 0 idxen             // 000000009390: E0502000 80052EFA
	s_mov_b64 exec, s[84:85]                                   // 000000009398: BEFE0154
	v_mfma_f32_16x16x16_f16 v[132:135], v[50:51], a[54:55], v[132:135]// 00000000939C: D3CD0084 16126D32
	v_mov_b32_dpp v127, v124 quad_perm:[3,3,3,3] row_mask:0xf bank_mask:0xf// 0000000093A4: 7EFE02FA FF00FF7C
	v_mov_b32_dpp v126, v124 quad_perm:[2,2,2,2] row_mask:0xf bank_mask:0xf// 0000000093AC: 7EFC02FA FF00AA7C
	v_mfma_f32_16x16x16_f16 v[132:135], v[52:53], a[58:59], v[132:135]// 0000000093B4: D3CD0084 16127534
	ds_read_b128 v[104:107], v10 offset:11392                  // 0000000093BC: D9FE2C80 6800000A
	v_mov_b32_e32 v47, 0                                       // 0000000093C4: 7E5E0280
	s_mov_b64 exec, s[86:87]                                   // 0000000093C8: BEFE0156
	buffer_load_dword v47, v251, s[20:23], 0 idxen             // 0000000093CC: E0502000 80052FFB
	s_mov_b64 exec, s[84:85]                                   // 0000000093D4: BEFE0154
	v_mfma_f32_16x16x16_f16 v[132:135], v[54:55], a[62:63], v[132:135]// 0000000093D8: D3CD0084 16127D36
	v_mov_b32_dpp v125, v124 quad_perm:[1,1,1,1] row_mask:0xf bank_mask:0xf// 0000000093E0: 7EFA02FA FF00557C
	v_mov_b32_dpp v124, v124 quad_perm:[0,0,0,0] row_mask:0xf bank_mask:0xf// 0000000093E8: 7EF802FA FF00007C
	s_add_u32 s60, 64, s59                                     // 0000000093F0: 803C3BC0
	v_mfma_f32_16x16x16_f16 v[132:135], v[56:57], a[66:67], v[132:135]// 0000000093F4: D3CD0084 16128538
	buffer_load_dword v9, s[24:27], 0 idxen lds                // 0000000093FC: E0512000 80060009
	v_mfma_f32_16x16x16_f16 v[132:135], v[58:59], a[70:71], v[132:135]// 000000009404: D3CD0084 16128D3A
	s_cmp_lt_u32 s60, s58                                      // 00000000940C: BF0A3A3C
	s_cselect_b32 s68, s68, 0                                  // 000000009410: 85448044
	s_cselect_b32 s95, s95, 0                                  // 000000009414: 855F805F
	s_cselect_b32 s69, s69, 0                                  // 000000009418: 85458045
	v_mfma_f32_16x16x16_f16 v[132:135], v[60:61], a[74:75], v[132:135]// 00000000941C: D3CD0084 1612953C
	v_add_u32_e32 v1, s68, v1                                  // 000000009424: 68020244
	v_add_u32_e32 v2, s68, v2                                  // 000000009428: 68040444
	v_add_u32_e32 v3, s68, v3                                  // 00000000942C: 68060644
	v_add_u32_e32 v4, s68, v4                                  // 000000009430: 68080844
	v_mfma_f32_16x16x16_f16 v[132:135], v[62:63], a[78:79], v[132:135]// 000000009434: D3CD0084 16129D3E
	v_add_u32_e32 v248, s95, v248                              // 00000000943C: 69F1F05F
	v_add_u32_e32 v249, s95, v249                              // 000000009440: 69F3F25F
	v_add_u32_e32 v250, s95, v250                              // 000000009444: 69F5F45F
	v_add_u32_e32 v251, s95, v251                              // 000000009448: 69F7F65F
	v_mfma_f32_16x16x16_f16 v[132:135], v[64:65], a[82:83], v[132:135]// 00000000944C: D3CD0084 1612A540
	s_mov_b32 m0, s74                                          // 000000009454: BEFC004A
	v_add_u32_e32 v9, s69, v9                                  // 000000009458: 68121245
	v_mfma_f32_16x16x16_f16 v[132:135], v[66:67], a[86:87], v[132:135]// 00000000945C: D3CD0084 1612AD42
	s_cmp_ge_u32 s59, s99                                      // 000000009464: BF09633B
	s_cselect_b32 s66, s67, s66                                // 000000009468: 85424243
	v_mfma_f32_16x16x16_f16 v[132:135], v[68:69], a[90:91], v[132:135]// 00000000946C: D3CD0084 1612B544
	s_addk_i32 s59, 0x10                                       // 000000009474: B73B0010
	s_nop 0                                                    // 000000009478: BF800000
	s_cmp_lt_i32 s59, s58                                      // 00000000947C: BF043A3B
	v_mfma_f32_16x16x16_f16 v[132:135], v[70:71], a[94:95], v[132:135]// 000000009480: D3CD0084 1612BD46
	s_cbranch_scc0 label_11C3                                  // 000000009488: BF84FC14
	s_waitcnt lgkmcnt(0)                                       // 00000000948C: BF8CC07F
	s_barrier                                                  // 000000009490: BF8A0000
	v_mfma_f32_16x16x16_f16 v[48:51], a[144:145], a[0:1], 0    // 000000009494: D3CD0030 1A020190
	v_mul_f32_e32 v128, s47, v128                              // 00000000949C: 0B01002F
	v_mul_f32_e32 v129, s47, v129                              // 0000000094A0: 0B03022F
	v_mfma_f32_16x16x16_f16 v[48:51], a[146:147], a[2:3], v[48:51]// 0000000094A4: D3CD0030 1CC20592
	ds_write_b32 v11, v40 offset:8704                          // 0000000094AC: D81A2200 0000280B
	ds_write_b32 v11, v41 offset:9760                          // 0000000094B4: D81A2620 0000290B
	v_mfma_f32_16x16x16_f16 v[48:51], a[148:149], a[4:5], v[48:51]// 0000000094BC: D3CD0030 1CC20994
	v_mul_f32_e32 v130, s47, v130                              // 0000000094C4: 0B05042F
	v_mul_f32_e32 v131, s47, v131                              // 0000000094C8: 0B07062F
	v_mfma_f32_16x16x16_f16 v[48:51], a[150:151], a[6:7], v[48:51]// 0000000094CC: D3CD0030 1CC20D96
	ds_write_b32 v11, v42 offset:8832                          // 0000000094D4: D81A2280 00002A0B
	ds_write_b32 v11, v43 offset:9888                          // 0000000094DC: D81A26A0 00002B0B
	v_mfma_f32_16x16x16_f16 v[48:51], a[152:153], a[8:9], v[48:51]// 0000000094E4: D3CD0030 1CC21198
	v_mul_f32_e32 v132, s47, v132                              // 0000000094EC: 0B09082F
	v_mul_f32_e32 v133, s47, v133                              // 0000000094F0: 0B0B0A2F
	v_mfma_f32_16x16x16_f16 v[48:51], a[154:155], a[10:11], v[48:51]// 0000000094F4: D3CD0030 1CC2159A
	ds_write_b64 v20, v[128:129] offset:24320                  // 0000000094FC: D89A5F00 00008014
	v_mfma_f32_16x16x16_f16 v[48:51], a[156:157], a[12:13], v[48:51]// 000000009504: D3CD0030 1CC2199C
	v_mul_f32_e32 v134, s47, v134                              // 00000000950C: 0B0D0C2F
	v_mul_f32_e32 v135, s47, v135                              // 000000009510: 0B0F0E2F
	v_mfma_f32_16x16x16_f16 v[48:51], a[158:159], a[14:15], v[48:51]// 000000009514: D3CD0030 1CC21D9E
	ds_write_b64 v20, v[130:131] offset:24832                  // 00000000951C: D89A6100 00008214
	v_mfma_f32_16x16x16_f16 v[52:55], a[144:145], a[16:17], 0  // 000000009524: D3CD0034 1A022190
	buffer_atomic_add_f32 v140, v7, s[32:35], 0 offen offset:256// 00000000952C: E1341100 80088C07
	v_mfma_f32_16x16x16_f16 v[52:55], a[146:147], a[18:19], v[52:55]// 000000009534: D3CD0034 1CD22592
	ds_write_b64 v20, v[132:133] offset:25344                  // 00000000953C: D89A6300 00008414
	v_mfma_f32_16x16x16_f16 v[52:55], a[148:149], a[20:21], v[52:55]// 000000009544: D3CD0034 1CD22994
	v_mfma_f32_16x16x16_f16 v[52:55], a[150:151], a[22:23], v[52:55]// 00000000954C: D3CD0034 1CD22D96
	ds_write_b64 v20, v[134:135] offset:25856                  // 000000009554: D89A6500 00008614
	v_mfma_f32_16x16x16_f16 v[52:55], a[152:153], a[24:25], v[52:55]// 00000000955C: D3CD0034 1CD23198
	buffer_atomic_add_f32 v141, v8, s[32:35], 0 offen offset:256// 000000009564: E1341100 80088D08
	v_mfma_f32_16x16x16_f16 v[52:55], a[154:155], a[26:27], v[52:55]// 00000000956C: D3CD0034 1CD2359A
	ds_read_b128 v[108:111], v12 offset:13056                  // 000000009574: D9FE3300 6C00000C
	ds_write_b32 v11, v32                                      // 00000000957C: D81A0000 0000200B
	v_mfma_f32_16x16x16_f16 v[52:55], a[156:157], a[28:29], v[52:55]// 000000009584: D3CD0034 1CD2399C
	v_mfma_f32_16x16x16_f16 v[52:55], a[158:159], a[30:31], v[52:55]// 00000000958C: D3CD0034 1CD23D9E
	v_mfma_f32_16x16x16_f16 v[56:59], a[144:145], a[32:33], 0  // 000000009594: D3CD0038 1A024190
	ds_read_b128 v[112:115], v12 offset:13568                  // 00000000959C: D9FE3500 7000000C
	ds_write_b32 v11, v33 offset:1056                          // 0000000095A4: D81A0420 0000210B
	v_mfma_f32_16x16x16_f16 v[56:59], a[146:147], a[34:35], v[56:59]// 0000000095AC: D3CD0038 1CE24592
	buffer_atomic_add_f32 v142, v7, s[32:35], 0 offen offset:384// 0000000095B4: E1341180 80088E07
	v_mfma_f32_16x16x16_f16 v[56:59], a[148:149], a[36:37], v[56:59]// 0000000095BC: D3CD0038 1CE24994
	v_mfma_f32_16x16x16_f16 v[56:59], a[150:151], a[38:39], v[56:59]// 0000000095C4: D3CD0038 1CE24D96
	ds_read_b128 v[116:119], v12 offset:15232                  // 0000000095CC: D9FE3B80 7400000C
	ds_write_b32 v11, v34 offset:128                           // 0000000095D4: D81A0080 0000220B
	v_mfma_f32_16x16x16_f16 v[56:59], a[152:153], a[40:41], v[56:59]// 0000000095DC: D3CD0038 1CE25198
	v_mfma_f32_16x16x16_f16 v[56:59], a[154:155], a[42:43], v[56:59]// 0000000095E4: D3CD0038 1CE2559A
	buffer_atomic_add_f32 v143, v8, s[32:35], 0 offen offset:384// 0000000095EC: E1341180 80088F08
	v_mfma_f32_16x16x16_f16 v[56:59], a[156:157], a[44:45], v[56:59]// 0000000095F4: D3CD0038 1CE2599C
	ds_read_b128 v[120:123], v12 offset:15744                  // 0000000095FC: D9FE3D80 7800000C
	ds_write_b32 v11, v35 offset:1184                          // 000000009604: D81A04A0 0000230B
	v_mfma_f32_16x16x16_f16 v[56:59], a[158:159], a[46:47], v[56:59]// 00000000960C: D3CD0038 1CE25D9E
	s_add_i32 s82, s59, s97                                    // 000000009614: 8152613B
	s_sub_i32 s82, s82, 1                                      // 000000009618: 81D28152
	s_add_i32 s81, s59, 16                                     // 00000000961C: 8151903B
	s_sub_i32 s81, s81, s98                                    // 000000009620: 81D16251
	s_add_i32 s81, s81, 1                                      // 000000009624: 81518151
	s_branch label_161D                                        // 000000009628: BF820000

000000000000962c <label_161D>:
	s_add_i32 s62, 0, s46                                      // 00000000962C: 813E2E80
	s_mul_i32 s62, s62, 16                                     // 000000009630: 923E903E
	s_add_i32 s62, s80, s62                                    // 000000009634: 813E3E50
	s_add_i32 s61, s62, 16                                     // 000000009638: 813D903E
	s_add_i32 s61, s61, 16                                     // 00000000963C: 813D903D
	s_cmp_lt_i32 s61, s81                                      // 000000009640: BF04513D
	s_cselect_b32 s60, 1, 0                                    // 000000009644: 853C8081
	s_sub_i32 s62, s62, 16                                     // 000000009648: 81BE903E
	s_cmp_gt_i32 s62, s82                                      // 00000000964C: BF02523E
	s_cselect_b32 s61, 1, 0                                    // 000000009650: 853D8081
	s_or_b32 s60, s60, s61                                     // 000000009654: 873C3D3C
	s_cmp_eq_i32 s60, 1                                        // 000000009658: BF00813C
	s_cbranch_scc1 label_16B0                                  // 00000000965C: BF850085
	s_add_i32 s61, s62, 32                                     // 000000009660: 813DA03E
	s_add_i32 s62, s62, 16                                     // 000000009664: 813E903E
	s_cmp_lt_i32 s62, s81                                      // 000000009668: BF04513E
	s_cselect_b32 s60, 1, 0                                    // 00000000966C: 853C8081
	s_cmp_gt_i32 s61, s82                                      // 000000009670: BF02523D
	s_cselect_b32 s61, 1, 0                                    // 000000009674: 853D8081
	s_or_b32 s60, s60, s61                                     // 000000009678: 873C3D3C
	s_cmp_eq_i32 s60, 1                                        // 00000000967C: BF00813C
	s_cbranch_scc1 label_1663                                  // 000000009680: BF85002F
	s_branch label_1634                                        // 000000009684: BF820000

0000000000009688 <label_1634>:
	s_add_i32 s62, 4, s46                                      // 000000009688: 813E2E84
	s_mul_i32 s62, s62, 16                                     // 00000000968C: 923E903E
	s_add_i32 s62, s80, s62                                    // 000000009690: 813E3E50
	s_add_i32 s61, s62, 16                                     // 000000009694: 813D903E
	s_add_i32 s61, s61, 16                                     // 000000009698: 813D903D
	s_cmp_lt_i32 s61, s81                                      // 00000000969C: BF04513D
	s_cselect_b32 s60, 1, 0                                    // 0000000096A0: 853C8081
	s_sub_i32 s62, s62, 16                                     // 0000000096A4: 81BE903E
	s_cmp_gt_i32 s62, s82                                      // 0000000096A8: BF02523E
	s_cselect_b32 s61, 1, 0                                    // 0000000096AC: 853D8081
	s_or_b32 s60, s60, s61                                     // 0000000096B0: 873C3D3C
	s_cmp_eq_i32 s60, 1                                        // 0000000096B4: BF00813C
	s_cbranch_scc1 label_1702                                  // 0000000096B8: BF8500C0
	s_add_i32 s61, s62, 32                                     // 0000000096BC: 813DA03E
	s_add_i32 s62, s62, 16                                     // 0000000096C0: 813E903E
	s_cmp_lt_i32 s62, s81                                      // 0000000096C4: BF04513E
	s_cselect_b32 s60, 1, 0                                    // 0000000096C8: 853C8081
	s_cmp_gt_i32 s61, s82                                      // 0000000096CC: BF02523D
	s_cselect_b32 s61, 1, 0                                    // 0000000096D0: 853D8081
	s_or_b32 s60, s60, s61                                     // 0000000096D4: 873C3D3C
	s_cmp_eq_i32 s60, 1                                        // 0000000096D8: BF00813C
	s_cbranch_scc1 label_16B5                                  // 0000000096DC: BF85006A
	s_branch label_164B                                        // 0000000096E0: BF820000

00000000000096e4 <label_164B>:
	s_add_i32 s62, 8, s46                                      // 0000000096E4: 813E2E88
	s_mul_i32 s62, s62, 16                                     // 0000000096E8: 923E903E
	s_add_i32 s62, s80, s62                                    // 0000000096EC: 813E3E50
	s_add_i32 s61, s62, 16                                     // 0000000096F0: 813D903E
	s_add_i32 s61, s61, 16                                     // 0000000096F4: 813D903D
	s_cmp_lt_i32 s61, s81                                      // 0000000096F8: BF04513D
	s_cselect_b32 s60, 1, 0                                    // 0000000096FC: 853C8081
	s_sub_i32 s62, s62, 16                                     // 000000009700: 81BE903E
	s_cmp_gt_i32 s62, s82                                      // 000000009704: BF02523E
	s_cselect_b32 s61, 1, 0                                    // 000000009708: 853D8081
	s_or_b32 s60, s60, s61                                     // 00000000970C: 873C3D3C
	s_cmp_eq_i32 s60, 1                                        // 000000009710: BF00813C
	s_cbranch_scc1 label_1754                                  // 000000009714: BF8500FB
	s_add_i32 s61, s62, 32                                     // 000000009718: 813DA03E
	s_add_i32 s62, s62, 16                                     // 00000000971C: 813E903E
	s_cmp_lt_i32 s62, s81                                      // 000000009720: BF04513E
	s_cselect_b32 s60, 1, 0                                    // 000000009724: 853C8081
	s_cmp_gt_i32 s61, s82                                      // 000000009728: BF02523D
	s_cselect_b32 s61, 1, 0                                    // 00000000972C: 853D8081
	s_or_b32 s60, s60, s61                                     // 000000009730: 873C3D3C
	s_cmp_eq_i32 s60, 1                                        // 000000009734: BF00813C
	s_cbranch_scc1 label_1707                                  // 000000009738: BF8500A5
	s_branch label_1759                                        // 00000000973C: BF8200F6

0000000000009740 <label_1663>:
	v_and_b32_e32 v28, 15, v0                                  // 000000009740: 2638008F
	v_add_u32_e32 v28, s62, v28                                // 000000009744: 6838383E
	v_lshrrev_b32_e32 v29, 4, v0                               // 000000009748: 203A0084
	v_lshlrev_b32_e32 v29, 2, v29                              // 00000000974C: 243A3A82
	v_add_i32 v29, 0, v29                                      // 000000009750: D29C001D 00023A80
	v_add_i32 v29, s59, v29                                    // 000000009758: D29C001D 00023A3B
	v_sub_i32 v29, v29, v28                                    // 000000009760: D29D001D 0002391D
	v_cmp_ge_i32_e64 vcc, v29, s98                             // 000000009768: D0C6006A 0000C51D
	v_sub_i32 v29, 0, v29                                      // 000000009770: D29D001D 00023A80
	v_cndmask_b32_e32 v48, v48, v151, vcc                      // 000000009778: 00612F30
	v_cmp_ge_i32_e64 vcc, v29, s97                             // 00000000977C: D0C6006A 0000C31D
	s_nop 1                                                    // 000000009784: BF800001
	v_cndmask_b32_e32 v48, v48, v151, vcc                      // 000000009788: 00612F30
	v_and_b32_e32 v28, 15, v0                                  // 00000000978C: 2638008F
	v_add_u32_e32 v28, s62, v28                                // 000000009790: 6838383E
	v_lshrrev_b32_e32 v29, 4, v0                               // 000000009794: 203A0084
	v_lshlrev_b32_e32 v29, 2, v29                              // 000000009798: 243A3A82
	v_add_i32 v29, 1, v29                                      // 00000000979C: D29C001D 00023A81
	v_add_i32 v29, s59, v29                                    // 0000000097A4: D29C001D 00023A3B
	v_sub_i32 v29, v29, v28                                    // 0000000097AC: D29D001D 0002391D
	v_cmp_ge_i32_e64 vcc, v29, s98                             // 0000000097B4: D0C6006A 0000C51D
	v_sub_i32 v29, 0, v29                                      // 0000000097BC: D29D001D 00023A80
	v_cndmask_b32_e32 v49, v49, v151, vcc                      // 0000000097C4: 00632F31
	v_cmp_ge_i32_e64 vcc, v29, s97                             // 0000000097C8: D0C6006A 0000C31D
	s_nop 1                                                    // 0000000097D0: BF800001
	v_cndmask_b32_e32 v49, v49, v151, vcc                      // 0000000097D4: 00632F31
	v_and_b32_e32 v28, 15, v0                                  // 0000000097D8: 2638008F
	v_add_u32_e32 v28, s62, v28                                // 0000000097DC: 6838383E
	v_lshrrev_b32_e32 v29, 4, v0                               // 0000000097E0: 203A0084
	v_lshlrev_b32_e32 v29, 2, v29                              // 0000000097E4: 243A3A82
	v_add_i32 v29, 2, v29                                      // 0000000097E8: D29C001D 00023A82
	v_add_i32 v29, s59, v29                                    // 0000000097F0: D29C001D 00023A3B
	v_sub_i32 v29, v29, v28                                    // 0000000097F8: D29D001D 0002391D
	v_cmp_ge_i32_e64 vcc, v29, s98                             // 000000009800: D0C6006A 0000C51D
	v_sub_i32 v29, 0, v29                                      // 000000009808: D29D001D 00023A80
	v_cndmask_b32_e32 v50, v50, v151, vcc                      // 000000009810: 00652F32
	v_cmp_ge_i32_e64 vcc, v29, s97                             // 000000009814: D0C6006A 0000C31D
	s_nop 1                                                    // 00000000981C: BF800001
	v_cndmask_b32_e32 v50, v50, v151, vcc                      // 000000009820: 00652F32
	v_and_b32_e32 v28, 15, v0                                  // 000000009824: 2638008F
	v_add_u32_e32 v28, s62, v28                                // 000000009828: 6838383E
	v_lshrrev_b32_e32 v29, 4, v0                               // 00000000982C: 203A0084
	v_lshlrev_b32_e32 v29, 2, v29                              // 000000009830: 243A3A82
	v_add_i32 v29, 3, v29                                      // 000000009834: D29C001D 00023A83
	v_add_i32 v29, s59, v29                                    // 00000000983C: D29C001D 00023A3B
	v_sub_i32 v29, v29, v28                                    // 000000009844: D29D001D 0002391D
	v_cmp_ge_i32_e64 vcc, v29, s98                             // 00000000984C: D0C6006A 0000C51D
	v_sub_i32 v29, 0, v29                                      // 000000009854: D29D001D 00023A80
	v_cndmask_b32_e32 v51, v51, v151, vcc                      // 00000000985C: 00672F33
	v_cmp_ge_i32_e64 vcc, v29, s97                             // 000000009860: D0C6006A 0000C31D
	s_nop 1                                                    // 000000009868: BF800001
	v_cndmask_b32_e32 v51, v51, v151, vcc                      // 00000000986C: 00672F33
	s_branch label_1634                                        // 000000009870: BF82FF85

0000000000009874 <label_16B0>:
	v_mov_b32_e32 v48, v151                                    // 000000009874: 7E600397
	v_mov_b32_e32 v49, v151                                    // 000000009878: 7E620397
	v_mov_b32_e32 v50, v151                                    // 00000000987C: 7E640397
	v_mov_b32_e32 v51, v151                                    // 000000009880: 7E660397
	s_branch label_1634                                        // 000000009884: BF82FF80

0000000000009888 <label_16B5>:
	v_and_b32_e32 v28, 15, v0                                  // 000000009888: 2638008F
	v_add_u32_e32 v28, s62, v28                                // 00000000988C: 6838383E
	v_lshrrev_b32_e32 v29, 4, v0                               // 000000009890: 203A0084
	v_lshlrev_b32_e32 v29, 2, v29                              // 000000009894: 243A3A82
	v_add_i32 v29, 0, v29                                      // 000000009898: D29C001D 00023A80
	v_add_i32 v29, s59, v29                                    // 0000000098A0: D29C001D 00023A3B
	v_sub_i32 v29, v29, v28                                    // 0000000098A8: D29D001D 0002391D
	v_cmp_ge_i32_e64 vcc, v29, s98                             // 0000000098B0: D0C6006A 0000C51D
	v_sub_i32 v29, 0, v29                                      // 0000000098B8: D29D001D 00023A80
	v_cndmask_b32_e32 v52, v52, v151, vcc                      // 0000000098C0: 00692F34
	v_cmp_ge_i32_e64 vcc, v29, s97                             // 0000000098C4: D0C6006A 0000C31D
	s_nop 1                                                    // 0000000098CC: BF800001
	v_cndmask_b32_e32 v52, v52, v151, vcc                      // 0000000098D0: 00692F34
	v_and_b32_e32 v28, 15, v0                                  // 0000000098D4: 2638008F
	v_add_u32_e32 v28, s62, v28                                // 0000000098D8: 6838383E
	v_lshrrev_b32_e32 v29, 4, v0                               // 0000000098DC: 203A0084
	v_lshlrev_b32_e32 v29, 2, v29                              // 0000000098E0: 243A3A82
	v_add_i32 v29, 1, v29                                      // 0000000098E4: D29C001D 00023A81
	v_add_i32 v29, s59, v29                                    // 0000000098EC: D29C001D 00023A3B
	v_sub_i32 v29, v29, v28                                    // 0000000098F4: D29D001D 0002391D
	v_cmp_ge_i32_e64 vcc, v29, s98                             // 0000000098FC: D0C6006A 0000C51D
	v_sub_i32 v29, 0, v29                                      // 000000009904: D29D001D 00023A80
	v_cndmask_b32_e32 v53, v53, v151, vcc                      // 00000000990C: 006B2F35
	v_cmp_ge_i32_e64 vcc, v29, s97                             // 000000009910: D0C6006A 0000C31D
	s_nop 1                                                    // 000000009918: BF800001
	v_cndmask_b32_e32 v53, v53, v151, vcc                      // 00000000991C: 006B2F35
	v_and_b32_e32 v28, 15, v0                                  // 000000009920: 2638008F
	v_add_u32_e32 v28, s62, v28                                // 000000009924: 6838383E
	v_lshrrev_b32_e32 v29, 4, v0                               // 000000009928: 203A0084
	v_lshlrev_b32_e32 v29, 2, v29                              // 00000000992C: 243A3A82
	v_add_i32 v29, 2, v29                                      // 000000009930: D29C001D 00023A82
	v_add_i32 v29, s59, v29                                    // 000000009938: D29C001D 00023A3B
	v_sub_i32 v29, v29, v28                                    // 000000009940: D29D001D 0002391D
	v_cmp_ge_i32_e64 vcc, v29, s98                             // 000000009948: D0C6006A 0000C51D
	v_sub_i32 v29, 0, v29                                      // 000000009950: D29D001D 00023A80
	v_cndmask_b32_e32 v54, v54, v151, vcc                      // 000000009958: 006D2F36
	v_cmp_ge_i32_e64 vcc, v29, s97                             // 00000000995C: D0C6006A 0000C31D
	s_nop 1                                                    // 000000009964: BF800001
	v_cndmask_b32_e32 v54, v54, v151, vcc                      // 000000009968: 006D2F36
	v_and_b32_e32 v28, 15, v0                                  // 00000000996C: 2638008F
	v_add_u32_e32 v28, s62, v28                                // 000000009970: 6838383E
	v_lshrrev_b32_e32 v29, 4, v0                               // 000000009974: 203A0084
	v_lshlrev_b32_e32 v29, 2, v29                              // 000000009978: 243A3A82
	v_add_i32 v29, 3, v29                                      // 00000000997C: D29C001D 00023A83
	v_add_i32 v29, s59, v29                                    // 000000009984: D29C001D 00023A3B
	v_sub_i32 v29, v29, v28                                    // 00000000998C: D29D001D 0002391D
	v_cmp_ge_i32_e64 vcc, v29, s98                             // 000000009994: D0C6006A 0000C51D
	v_sub_i32 v29, 0, v29                                      // 00000000999C: D29D001D 00023A80
	v_cndmask_b32_e32 v55, v55, v151, vcc                      // 0000000099A4: 006F2F37
	v_cmp_ge_i32_e64 vcc, v29, s97                             // 0000000099A8: D0C6006A 0000C31D
	s_nop 1                                                    // 0000000099B0: BF800001
	v_cndmask_b32_e32 v55, v55, v151, vcc                      // 0000000099B4: 006F2F37
	s_branch label_164B                                        // 0000000099B8: BF82FF4A

00000000000099bc <label_1702>:
	v_mov_b32_e32 v52, v151                                    // 0000000099BC: 7E680397
	v_mov_b32_e32 v53, v151                                    // 0000000099C0: 7E6A0397
	v_mov_b32_e32 v54, v151                                    // 0000000099C4: 7E6C0397
	v_mov_b32_e32 v55, v151                                    // 0000000099C8: 7E6E0397
	s_branch label_164B                                        // 0000000099CC: BF82FF45

00000000000099d0 <label_1707>:
	v_and_b32_e32 v28, 15, v0                                  // 0000000099D0: 2638008F
	v_add_u32_e32 v28, s62, v28                                // 0000000099D4: 6838383E
	v_lshrrev_b32_e32 v29, 4, v0                               // 0000000099D8: 203A0084
	v_lshlrev_b32_e32 v29, 2, v29                              // 0000000099DC: 243A3A82
	v_add_i32 v29, 0, v29                                      // 0000000099E0: D29C001D 00023A80
	v_add_i32 v29, s59, v29                                    // 0000000099E8: D29C001D 00023A3B
	v_sub_i32 v29, v29, v28                                    // 0000000099F0: D29D001D 0002391D
	v_cmp_ge_i32_e64 vcc, v29, s98                             // 0000000099F8: D0C6006A 0000C51D
	v_sub_i32 v29, 0, v29                                      // 000000009A00: D29D001D 00023A80
	v_cndmask_b32_e32 v56, v56, v151, vcc                      // 000000009A08: 00712F38
	v_cmp_ge_i32_e64 vcc, v29, s97                             // 000000009A0C: D0C6006A 0000C31D
	s_nop 1                                                    // 000000009A14: BF800001
	v_cndmask_b32_e32 v56, v56, v151, vcc                      // 000000009A18: 00712F38
	v_and_b32_e32 v28, 15, v0                                  // 000000009A1C: 2638008F
	v_add_u32_e32 v28, s62, v28                                // 000000009A20: 6838383E
	v_lshrrev_b32_e32 v29, 4, v0                               // 000000009A24: 203A0084
	v_lshlrev_b32_e32 v29, 2, v29                              // 000000009A28: 243A3A82
	v_add_i32 v29, 1, v29                                      // 000000009A2C: D29C001D 00023A81
	v_add_i32 v29, s59, v29                                    // 000000009A34: D29C001D 00023A3B
	v_sub_i32 v29, v29, v28                                    // 000000009A3C: D29D001D 0002391D
	v_cmp_ge_i32_e64 vcc, v29, s98                             // 000000009A44: D0C6006A 0000C51D
	v_sub_i32 v29, 0, v29                                      // 000000009A4C: D29D001D 00023A80
	v_cndmask_b32_e32 v57, v57, v151, vcc                      // 000000009A54: 00732F39
	v_cmp_ge_i32_e64 vcc, v29, s97                             // 000000009A58: D0C6006A 0000C31D
	s_nop 1                                                    // 000000009A60: BF800001
	v_cndmask_b32_e32 v57, v57, v151, vcc                      // 000000009A64: 00732F39
	v_and_b32_e32 v28, 15, v0                                  // 000000009A68: 2638008F
	v_add_u32_e32 v28, s62, v28                                // 000000009A6C: 6838383E
	v_lshrrev_b32_e32 v29, 4, v0                               // 000000009A70: 203A0084
	v_lshlrev_b32_e32 v29, 2, v29                              // 000000009A74: 243A3A82
	v_add_i32 v29, 2, v29                                      // 000000009A78: D29C001D 00023A82
	v_add_i32 v29, s59, v29                                    // 000000009A80: D29C001D 00023A3B
	v_sub_i32 v29, v29, v28                                    // 000000009A88: D29D001D 0002391D
	v_cmp_ge_i32_e64 vcc, v29, s98                             // 000000009A90: D0C6006A 0000C51D
	v_sub_i32 v29, 0, v29                                      // 000000009A98: D29D001D 00023A80
	v_cndmask_b32_e32 v58, v58, v151, vcc                      // 000000009AA0: 00752F3A
	v_cmp_ge_i32_e64 vcc, v29, s97                             // 000000009AA4: D0C6006A 0000C31D
	s_nop 1                                                    // 000000009AAC: BF800001
	v_cndmask_b32_e32 v58, v58, v151, vcc                      // 000000009AB0: 00752F3A
	v_and_b32_e32 v28, 15, v0                                  // 000000009AB4: 2638008F
	v_add_u32_e32 v28, s62, v28                                // 000000009AB8: 6838383E
	v_lshrrev_b32_e32 v29, 4, v0                               // 000000009ABC: 203A0084
	v_lshlrev_b32_e32 v29, 2, v29                              // 000000009AC0: 243A3A82
	v_add_i32 v29, 3, v29                                      // 000000009AC4: D29C001D 00023A83
	v_add_i32 v29, s59, v29                                    // 000000009ACC: D29C001D 00023A3B
	v_sub_i32 v29, v29, v28                                    // 000000009AD4: D29D001D 0002391D
	v_cmp_ge_i32_e64 vcc, v29, s98                             // 000000009ADC: D0C6006A 0000C51D
	v_sub_i32 v29, 0, v29                                      // 000000009AE4: D29D001D 00023A80
	v_cndmask_b32_e32 v59, v59, v151, vcc                      // 000000009AEC: 00772F3B
	v_cmp_ge_i32_e64 vcc, v29, s97                             // 000000009AF0: D0C6006A 0000C31D
	s_nop 1                                                    // 000000009AF8: BF800001
	v_cndmask_b32_e32 v59, v59, v151, vcc                      // 000000009AFC: 00772F3B
	s_branch label_1759                                        // 000000009B00: BF820005

0000000000009b04 <label_1754>:
	v_mov_b32_e32 v56, v151                                    // 000000009B04: 7E700397
	v_mov_b32_e32 v57, v151                                    // 000000009B08: 7E720397
	v_mov_b32_e32 v58, v151                                    // 000000009B0C: 7E740397
	v_mov_b32_e32 v59, v151                                    // 000000009B10: 7E760397
	s_branch label_1759                                        // 000000009B14: BF820000

0000000000009b18 <label_1759>:
	s_cmp_lt_i32 s100, 0xc0                                    // 000000009B18: BF04FF64 000000C0
	s_cbranch_scc0 label_17AE                                  // 000000009B20: BF84004D
	s_cmp_le_i32 s100, 64                                      // 000000009B24: BF05C064
	s_cbranch_scc1 label_1765                                  // 000000009B28: BF850007
	s_cmp_le_i32 s100, 0x80                                    // 000000009B2C: BF05FF64 00000080
	s_cbranch_scc1 label_177D                                  // 000000009B34: BF850017
	s_cmp_lt_i32 s100, 0xc0                                    // 000000009B38: BF04FF64 000000C0
	s_cbranch_scc1 label_1795                                  // 000000009B40: BF85002C
	s_branch label_17AE                                        // 000000009B44: BF820044

0000000000009b48 <label_1765>:
	s_mov_b32 s60, 0                                           // 000000009B48: BEBC0080
	v_and_b32_e32 v28, 15, v0                                  // 000000009B4C: 2638008F
	v_add_u32_e64 v28, v28, s60                                // 000000009B50: D134001C 0000791C
	v_mul_i32_i24_e64 v29, s46, 16                             // 000000009B58: D106001D 0001202E
	v_add_u32_e32 v28, v28, v29                                // 000000009B60: 68383B1C
	v_cmp_lt_u32_e64 s[60:61], v28, s100                       // 000000009B64: D0C9003C 0000C91C
	s_nop 1                                                    // 000000009B6C: BF800001
	v_cndmask_b32_e64 v48, v151, v48, s[60:61]                 // 000000009B70: D1000030 00F26197
	v_cndmask_b32_e64 v49, v151, v49, s[60:61]                 // 000000009B78: D1000031 00F26397
	v_cndmask_b32_e64 v50, v151, v50, s[60:61]                 // 000000009B80: D1000032 00F26597
	v_cndmask_b32_e64 v51, v151, v51, s[60:61]                 // 000000009B88: D1000033 00F26797
	s_branch label_1790                                        // 000000009B90: BF820013

0000000000009b94 <label_177D>:
	s_mov_b32 s60, 64                                          // 000000009B94: BEBC00C0
	v_and_b32_e32 v28, 15, v0                                  // 000000009B98: 2638008F
	v_add_u32_e64 v28, v28, s60                                // 000000009B9C: D134001C 0000791C
	v_mul_i32_i24_e64 v29, s46, 16                             // 000000009BA4: D106001D 0001202E
	v_add_u32_e32 v28, v28, v29                                // 000000009BAC: 68383B1C
	v_cmp_lt_u32_e64 s[60:61], v28, s100                       // 000000009BB0: D0C9003C 0000C91C
	s_nop 1                                                    // 000000009BB8: BF800001
	v_cndmask_b32_e64 v52, v151, v52, s[60:61]                 // 000000009BBC: D1000034 00F26997
	v_cndmask_b32_e64 v53, v151, v53, s[60:61]                 // 000000009BC4: D1000035 00F26B97
	v_cndmask_b32_e64 v54, v151, v54, s[60:61]                 // 000000009BCC: D1000036 00F26D97
	v_cndmask_b32_e64 v55, v151, v55, s[60:61]                 // 000000009BD4: D1000037 00F26F97
	s_branch label_17A9                                        // 000000009BDC: BF820019

0000000000009be0 <label_1790>:
	v_mov_b32_e32 v52, v151                                    // 000000009BE0: 7E680397
	v_mov_b32_e32 v53, v151                                    // 000000009BE4: 7E6A0397
	v_mov_b32_e32 v54, v151                                    // 000000009BE8: 7E6C0397
	v_mov_b32_e32 v55, v151                                    // 000000009BEC: 7E6E0397
	s_branch label_17A9                                        // 000000009BF0: BF820014

0000000000009bf4 <label_1795>:
	s_mov_b32 s60, 0x80                                        // 000000009BF4: BEBC00FF 00000080
	v_and_b32_e32 v28, 15, v0                                  // 000000009BFC: 2638008F
	v_add_u32_e64 v28, v28, s60                                // 000000009C00: D134001C 0000791C
	v_mul_i32_i24_e64 v29, s46, 16                             // 000000009C08: D106001D 0001202E
	v_add_u32_e32 v28, v28, v29                                // 000000009C10: 68383B1C
	v_cmp_lt_u32_e64 s[60:61], v28, s100                       // 000000009C14: D0C9003C 0000C91C
	s_nop 1                                                    // 000000009C1C: BF800001
	v_cndmask_b32_e64 v56, v151, v56, s[60:61]                 // 000000009C20: D1000038 00F27197
	v_cndmask_b32_e64 v57, v151, v57, s[60:61]                 // 000000009C28: D1000039 00F27397
	v_cndmask_b32_e64 v58, v151, v58, s[60:61]                 // 000000009C30: D100003A 00F27597
	v_cndmask_b32_e64 v59, v151, v59, s[60:61]                 // 000000009C38: D100003B 00F27797
	s_branch label_17AE                                        // 000000009C40: BF820005

0000000000009c44 <label_17A9>:
	v_mov_b32_e32 v56, v151                                    // 000000009C44: 7E700397
	v_mov_b32_e32 v57, v151                                    // 000000009C48: 7E720397
	v_mov_b32_e32 v58, v151                                    // 000000009C4C: 7E740397
	v_mov_b32_e32 v59, v151                                    // 000000009C50: 7E760397
	s_branch label_17AE                                        // 000000009C54: BF820000

0000000000009c58 <label_17AE>:
	s_waitcnt lgkmcnt(8)                                       // 000000009C58: BF8CC87F
	s_barrier                                                  // 000000009C5C: BF8A0000
	v_mfma_f32_16x16x16_f16 v[72:75], v[92:93], a[96:97], 0    // 000000009C60: D3CD0048 1202C15C
	v_fma_f32 v48, v48, s57, -v124                             // 000000009C68: D1CB0030 85F07330
	v_fma_f32 v49, v49, s57, -v125                             // 000000009C70: D1CB0031 85F47331
	v_fma_f32 v50, v50, s57, -v126                             // 000000009C78: D1CB0032 85F87332
	v_mfma_f32_16x16x16_f16 v[72:75], v[94:95], a[98:99], v[72:75]// 000000009C80: D3CD0048 1522C55E
	ds_read_b128 a[144:147], v12 offset:4352                   // 000000009C88: DBFE1100 9000000C
	ds_read_b128 a[148:151], v12 offset:4864                   // 000000009C90: DBFE1300 9400000C
	v_mfma_f32_16x16x16_f16 v[72:75], v[96:97], a[100:101], v[72:75]// 000000009C98: D3CD0048 1522C960
	v_fma_f32 v51, v51, s57, -v127                             // 000000009CA0: D1CB0033 85FC7333
	v_fma_f32 v52, v52, s57, -v124                             // 000000009CA8: D1CB0034 85F07334
	v_fma_f32 v53, v53, s57, -v125                             // 000000009CB0: D1CB0035 85F47335
	v_mfma_f32_16x16x16_f16 v[72:75], v[98:99], a[102:103], v[72:75]// 000000009CB8: D3CD0048 1522CD62
	v_fma_f32 v54, v54, s57, -v126                             // 000000009CC0: D1CB0036 85F87336
	v_fma_f32 v55, v55, s57, -v127                             // 000000009CC8: D1CB0037 85FC7337
	v_fma_f32 v56, v56, s57, -v124                             // 000000009CD0: D1CB0038 85F07338
	v_mfma_f32_16x16x16_f16 v[72:75], v[100:101], a[104:105], v[72:75]// 000000009CD8: D3CD0048 1522D164
	v_fma_f32 v57, v57, s57, -v125                             // 000000009CE0: D1CB0039 85F47339
	v_fma_f32 v58, v58, s57, -v126                             // 000000009CE8: D1CB003A 85F8733A
	v_fma_f32 v59, v59, s57, -v127                             // 000000009CF0: D1CB003B 85FC733B
	v_mfma_f32_16x16x16_f16 v[72:75], v[102:103], a[106:107], v[72:75]// 000000009CF8: D3CD0048 1522D566
	ds_read_b128 a[152:155], v12 offset:6528                   // 000000009D00: DBFE1980 9800000C
	ds_read_b128 a[156:159], v12 offset:7040                   // 000000009D08: DBFE1B80 9C00000C
	v_mfma_f32_16x16x16_f16 v[72:75], v[104:105], a[108:109], v[72:75]// 000000009D10: D3CD0048 1522D968
	v_exp_f32_e32 v48, v48                                     // 000000009D18: 7E604130
	v_mfma_f32_16x16x16_f16 v[72:75], v[106:107], a[110:111], v[72:75]// 000000009D1C: D3CD0048 1522DD6A
	v_exp_f32_e32 v49, v49                                     // 000000009D24: 7E624131
	v_mfma_f32_16x16x16_f16 v[76:79], v[92:93], a[112:113], 0  // 000000009D28: D3CD004C 1202E15C
	v_exp_f32_e32 v50, v50                                     // 000000009D30: 7E644132
	v_mfma_f32_16x16x16_f16 v[76:79], v[94:95], a[114:115], v[76:79]// 000000009D34: D3CD004C 1532E55E
	ds_read_b64 v[136:137], v19 offset:24320                   // 000000009D3C: D8EC5F00 88000013
	ds_read_b64 v[138:139], v19 offset:26368                   // 000000009D44: D8EC6700 8A000013
	v_mfma_f32_16x16x16_f16 v[76:79], v[96:97], a[116:117], v[76:79]// 000000009D4C: D3CD004C 1532E960
	v_exp_f32_e32 v51, v51                                     // 000000009D54: 7E664133
	v_mfma_f32_16x16x16_f16 v[76:79], v[98:99], a[118:119], v[76:79]// 000000009D58: D3CD004C 1532ED62
	ds_read_b64 v[140:141], v19 offset:28416                   // 000000009D60: D8EC6F00 8C000013
	ds_read_b64 v[142:143], v19 offset:30464                   // 000000009D68: D8EC7700 8E000013
	v_mfma_f32_16x16x16_f16 v[76:79], v[100:101], a[120:121], v[76:79]// 000000009D70: D3CD004C 1532F164
	v_exp_f32_e32 v52, v52                                     // 000000009D78: 7E684134
	v_mfma_f32_16x16x16_f16 v[76:79], v[102:103], a[122:123], v[76:79]// 000000009D7C: D3CD004C 1532F566
	v_exp_f32_e32 v53, v53                                     // 000000009D84: 7E6A4135
	v_mfma_f32_16x16x16_f16 v[76:79], v[104:105], a[124:125], v[76:79]// 000000009D88: D3CD004C 1532F968
	v_exp_f32_e32 v54, v54                                     // 000000009D90: 7E6C4136
	v_mfma_f32_16x16x16_f16 v[76:79], v[106:107], a[126:127], v[76:79]// 000000009D94: D3CD004C 1532FD6A
	v_exp_f32_e32 v55, v55                                     // 000000009D9C: 7E6E4137
	v_mfma_f32_16x16x16_f16 v[80:83], v[92:93], a[128:129], 0  // 000000009DA0: D3CD0050 1203015C
	v_exp_f32_e32 v56, v56                                     // 000000009DA8: 7E704138
	v_mfma_f32_16x16x16_f16 v[80:83], v[94:95], a[130:131], v[80:83]// 000000009DAC: D3CD0050 1543055E
	v_exp_f32_e32 v57, v57                                     // 000000009DB4: 7E724139
	v_mfma_f32_16x16x16_f16 v[80:83], v[96:97], a[132:133], v[80:83]// 000000009DB8: D3CD0050 15430960
	v_exp_f32_e32 v58, v58                                     // 000000009DC0: 7E74413A
	v_mfma_f32_16x16x16_f16 v[80:83], v[98:99], a[134:135], v[80:83]// 000000009DC4: D3CD0050 15430D62
	v_exp_f32_e32 v59, v59                                     // 000000009DCC: 7E76413B
	v_mfma_f32_16x16x16_f16 v[80:83], v[100:101], a[136:137], v[80:83]// 000000009DD0: D3CD0050 15431164
	v_cvt_pkrtz_f16_f32 v144, v48, v49                         // 000000009DD8: D2960090 00026330
	v_cvt_pkrtz_f16_f32 v145, v50, v51                         // 000000009DE0: D2960091 00026732
	v_cvt_pkrtz_f16_f32 v146, v52, v53                         // 000000009DE8: D2960092 00026B34
	v_mfma_f32_16x16x16_f16 v[80:83], v[102:103], a[138:139], v[80:83]// 000000009DF0: D3CD0050 15431566
	v_cvt_pkrtz_f16_f32 v147, v54, v55                         // 000000009DF8: D2960093 00026F36
	v_cvt_pkrtz_f16_f32 v148, v56, v57                         // 000000009E00: D2960094 00027338
	v_cvt_pkrtz_f16_f32 v149, v58, v59                         // 000000009E08: D2960095 0002773A
	v_mfma_f32_16x16x16_f16 v[80:83], v[104:105], a[140:141], v[80:83]// 000000009E10: D3CD0050 15431968
	v_add_u32_e32 v7, s66, v7                                  // 000000009E18: 680E0E42
	v_add_u32_e32 v8, s66, v8                                  // 000000009E1C: 68101042
	v_mfma_f32_16x16x16_f16 v[80:83], v[106:107], a[142:143], v[80:83]// 000000009E20: D3CD0050 15431D6A
	s_waitcnt lgkmcnt(0)                                       // 000000009E28: BF8CC07F
	s_barrier                                                  // 000000009E2C: BF8A0000
	v_mfma_f32_16x16x16_f16 v[152:155], v[108:109], v[144:145], v[152:155]// 000000009E30: D3CD0098 0663216C
	v_subrev_f32_dpp v72, v150, v72 quad_perm:[0,0,0,0] row_mask:0xf bank_mask:0xf// 000000009E38: 069090FA FF000096
	v_subrev_f32_dpp v73, v150, v73 quad_perm:[1,1,1,1] row_mask:0xf bank_mask:0xf// 000000009E40: 069292FA FF005596
	v_subrev_f32_dpp v74, v150, v74 quad_perm:[2,2,2,2] row_mask:0xf bank_mask:0xf// 000000009E48: 069494FA FF00AA96
	v_mfma_f32_16x16x16_f16 v[156:159], v[110:111], v[144:145], v[156:159]// 000000009E50: D3CD009C 0673216E
	v_subrev_f32_dpp v75, v150, v75 quad_perm:[3,3,3,3] row_mask:0xf bank_mask:0xf// 000000009E58: 069696FA FF00FF96
	v_subrev_f32_dpp v76, v150, v76 quad_perm:[0,0,0,0] row_mask:0xf bank_mask:0xf// 000000009E60: 069898FA FF000096
	v_subrev_f32_dpp v77, v150, v77 quad_perm:[1,1,1,1] row_mask:0xf bank_mask:0xf// 000000009E68: 069A9AFA FF005596
	v_mfma_f32_16x16x16_f16 v[160:163], v[112:113], v[144:145], v[160:163]// 000000009E70: D3CD00A0 06832170
	v_mul_f32_e32 v72, v48, v72                                // 000000009E78: 0A909130
	v_mul_f32_e32 v73, v49, v73                                // 000000009E7C: 0A929331
	v_mul_f32_e32 v74, v50, v74                                // 000000009E80: 0A949532
	v_mfma_f32_16x16x16_f16 v[164:167], v[114:115], v[144:145], v[164:167]// 000000009E84: D3CD00A4 06932172
	v_mul_f32_e32 v75, v51, v75                                // 000000009E8C: 0A969733
	v_mul_f32_e32 v76, v52, v76                                // 000000009E90: 0A989934
	v_mul_f32_e32 v77, v53, v77                                // 000000009E94: 0A9A9B35
	v_mfma_f32_16x16x16_f16 v[168:171], v[116:117], v[144:145], v[168:171]// 000000009E98: D3CD00A8 06A32174
	v_cvt_pkrtz_f16_f32 v72, v72, v73                          // 000000009EA0: D2960048 00029348
	v_cvt_pkrtz_f16_f32 v73, v74, v75                          // 000000009EA8: D2960049 0002974A
	v_cvt_pkrtz_f16_f32 v74, v76, v77                          // 000000009EB0: D296004A 00029B4C
	v_mfma_f32_16x16x16_f16 v[172:175], v[118:119], v[144:145], v[172:175]// 000000009EB8: D3CD00AC 06B32176
	v_mov_b32_dpp v16, v72 quad_perm:[1,0,3,2] row_mask:0xf bank_mask:0xf// 000000009EC0: 7E2002FA FF00B148
	v_perm_b32 v48, v16, v72, v15                              // 000000009EC8: D1ED0030 043E9110
	v_mov_b32_dpp v16, v73 quad_perm:[1,0,3,2] row_mask:0xf bank_mask:0xf// 000000009ED0: 7E2002FA FF00B149
	v_mfma_f32_16x16x16_f16 v[176:179], v[120:121], v[144:145], v[176:179]// 000000009ED8: D3CD00B0 06C32178
	ds_write_b32 v18, v48 offset:17408                         // 000000009EE0: D81A4400 00003012
	v_mfma_f32_16x16x16_f16 v[180:183], v[122:123], v[144:145], v[180:183]// 000000009EE8: D3CD00B4 06D3217A
	v_perm_b32 v49, v16, v73, v15                              // 000000009EF0: D1ED0031 043E9310
	v_mov_b32_dpp v16, v74 quad_perm:[1,0,3,2] row_mask:0xf bank_mask:0xf// 000000009EF8: 7E2002FA FF00B14A
	v_perm_b32 v50, v16, v74, v15                              // 000000009F00: D1ED0032 043E9510
	v_mfma_f32_16x16x16_f16 v[184:187], v[108:109], v[146:147], v[184:187]// 000000009F08: D3CD00B8 06E3256C
	ds_write_b32 v18, v49 offset:17952                         // 000000009F10: D81A4620 00003112
	v_mfma_f32_16x16x16_f16 v[188:191], v[110:111], v[146:147], v[188:191]// 000000009F18: D3CD00BC 06F3256E
	v_subrev_f32_dpp v78, v150, v78 quad_perm:[2,2,2,2] row_mask:0xf bank_mask:0xf// 000000009F20: 069C9CFA FF00AA96
	v_subrev_f32_dpp v79, v150, v79 quad_perm:[3,3,3,3] row_mask:0xf bank_mask:0xf// 000000009F28: 069E9EFA FF00FF96
	v_subrev_f32_dpp v80, v150, v80 quad_perm:[0,0,0,0] row_mask:0xf bank_mask:0xf// 000000009F30: 06A0A0FA FF000096
	v_mfma_f32_16x16x16_f16 v[192:195], v[112:113], v[146:147], v[192:195]// 000000009F38: D3CD00C0 07032570
	ds_write_b32 v18, v50 offset:19712                         // 000000009F40: D81A4D00 00003212
	v_mfma_f32_16x16x16_f16 v[196:199], v[114:115], v[146:147], v[196:199]// 000000009F48: D3CD00C4 07132572
	v_subrev_f32_dpp v81, v150, v81 quad_perm:[1,1,1,1] row_mask:0xf bank_mask:0xf// 000000009F50: 06A2A2FA FF005596
	v_subrev_f32_dpp v82, v150, v82 quad_perm:[2,2,2,2] row_mask:0xf bank_mask:0xf// 000000009F58: 06A4A4FA FF00AA96
	v_subrev_f32_dpp v83, v150, v83 quad_perm:[3,3,3,3] row_mask:0xf bank_mask:0xf// 000000009F60: 06A6A6FA FF00FF96
	v_mfma_f32_16x16x16_f16 v[200:203], v[116:117], v[146:147], v[200:203]// 000000009F68: D3CD00C8 07232574
	v_mul_f32_e32 v78, v54, v78                                // 000000009F70: 0A9C9D36
	v_mul_f32_e32 v79, v55, v79                                // 000000009F74: 0A9E9F37
	v_mul_f32_e32 v80, v56, v80                                // 000000009F78: 0AA0A138
	v_mfma_f32_16x16x16_f16 v[204:207], v[118:119], v[146:147], v[204:207]// 000000009F7C: D3CD00CC 07332576
	v_mul_f32_e32 v81, v57, v81                                // 000000009F84: 0AA2A339
	v_mul_f32_e32 v82, v58, v82                                // 000000009F88: 0AA4A53A
	v_mul_f32_e32 v83, v59, v83                                // 000000009F8C: 0AA6A73B
	v_mfma_f32_16x16x16_f16 v[208:211], v[120:121], v[146:147], v[208:211]// 000000009F90: D3CD00D0 07432578
	v_cvt_pkrtz_f16_f32 v75, v78, v79                          // 000000009F98: D296004B 00029F4E
	v_cvt_pkrtz_f16_f32 v76, v80, v81                          // 000000009FA0: D296004C 0002A350
	v_cvt_pkrtz_f16_f32 v77, v82, v83                          // 000000009FA8: D296004D 0002A752
	v_mfma_f32_16x16x16_f16 v[212:215], v[122:123], v[146:147], v[212:215]// 000000009FB0: D3CD00D4 0753257A
	v_mov_b32_dpp v16, v75 quad_perm:[1,0,3,2] row_mask:0xf bank_mask:0xf// 000000009FB8: 7E2002FA FF00B14B
	v_perm_b32 v51, v16, v75, v15                              // 000000009FC0: D1ED0033 043E9710
	v_mov_b32_dpp v16, v76 quad_perm:[1,0,3,2] row_mask:0xf bank_mask:0xf// 000000009FC8: 7E2002FA FF00B14C
	v_mfma_f32_16x16x16_f16 v[216:219], v[108:109], v[148:149], v[216:219]// 000000009FD0: D3CD00D8 0763296C
	ds_write_b32 v18, v51 offset:20256                         // 000000009FD8: D81A4F20 00003312
	v_mfma_f32_16x16x16_f16 v[220:223], v[110:111], v[148:149], v[220:223]// 000000009FE0: D3CD00DC 0773296E
	v_perm_b32 v52, v16, v76, v15                              // 000000009FE8: D1ED0034 043E9910
	v_mov_b32_dpp v16, v77 quad_perm:[1,0,3,2] row_mask:0xf bank_mask:0xf// 000000009FF0: 7E2002FA FF00B14D
	v_perm_b32 v53, v16, v77, v15                              // 000000009FF8: D1ED0035 043E9B10
	v_mfma_f32_16x16x16_f16 v[224:227], v[112:113], v[148:149], v[224:227]// 00000000A000: D3CD00E0 07832970
	ds_write_b32 v18, v52 offset:22016                         // 00000000A008: D81A5600 00003412
	ds_write_b32 v18, v53 offset:22560                         // 00000000A010: D81A5820 00003512
	v_mfma_f32_16x16x16_f16 v[228:231], v[114:115], v[148:149], v[228:231]// 00000000A018: D3CD00E4 07932972
	v_mfma_f32_16x16x16_f16 v[232:235], v[116:117], v[148:149], v[232:235]// 00000000A020: D3CD00E8 07A32974
	ds_write_b32 v13, v84 offset:4352                          // 00000000A028: D81A1100 0000540D
	ds_write_b32 v13, v85 offset:5408                          // 00000000A030: D81A1520 0000550D
	v_mfma_f32_16x16x16_f16 v[236:239], v[118:119], v[148:149], v[236:239]// 00000000A038: D3CD00EC 07B32976
	v_mfma_f32_16x16x16_f16 v[240:243], v[120:121], v[148:149], v[240:243]// 00000000A040: D3CD00F0 07C32978
	ds_write_b32 v13, v86 offset:4480                          // 00000000A048: D81A1180 0000560D
	ds_write_b32 v13, v87 offset:5536                          // 00000000A050: D81A15A0 0000570D
	v_mfma_f32_16x16x16_f16 v[244:247], v[122:123], v[148:149], v[244:247]// 00000000A058: D3CD00F4 07D3297A
	s_nop 0                                                    // 00000000A060: BF800000
	s_nop 0                                                    // 00000000A064: BF800000
	s_nop 0                                                    // 00000000A068: BF800000
	s_barrier                                                  // 00000000A06C: BF8A0000
	v_mfma_f32_16x16x16_f16 a[160:163], a[144:145], v[72:73], a[160:163]// 00000000A070: D3CD80A0 0E829190
	ds_read_b32 v124, v21 offset:50688                         // 00000000A078: D86CC600 7C000015
	ds_read_b32 v150, v21 offset:50944                         // 00000000A080: D86CC700 96000015
	v_mfma_f32_16x16x16_f16 a[164:167], a[146:147], v[72:73], a[164:167]// 00000000A088: D3CD80A4 0E929192
	buffer_atomic_add_f32 v136, v7, s[32:35], 0 offen          // 00000000A090: E1341000 80088807
	v_mfma_f32_16x16x16_f16 a[168:171], a[148:149], v[72:73], a[168:171]// 00000000A098: D3CD80A8 0EA29194
	s_waitcnt lgkmcnt(6)                                       // 00000000A0A0: BF8CC67F
	s_barrier                                                  // 00000000A0A4: BF8A0000
	v_mfma_f32_16x16x16_f16 a[172:175], a[150:151], v[72:73], a[172:175]// 00000000A0A8: D3CD80AC 0EB29196
	v_mfma_f32_16x16x16_f16 a[176:179], a[152:153], v[72:73], a[176:179]// 00000000A0B0: D3CD80B0 0EC29198
	ds_read_b128 v[48:51], v17 offset:17408                    // 00000000A0B8: D9FE4400 30000011
	v_mfma_f32_16x16x16_f16 a[180:183], a[154:155], v[72:73], a[180:183]// 00000000A0C0: D3CD80B4 0ED2919A
	v_mfma_f32_16x16x16_f16 a[184:187], a[156:157], v[72:73], a[184:187]// 00000000A0C8: D3CD80B8 0EE2919C
	ds_read_b128 v[52:55], v17 offset:18560                    // 00000000A0D0: D9FE4880 34000011
	v_mfma_f32_16x16x16_f16 a[188:191], a[158:159], v[72:73], a[188:191]// 00000000A0D8: D3CD80BC 0EF2919E
	buffer_atomic_add_f32 v137, v8, s[32:35], 0 offen          // 00000000A0E0: E1341000 80088908
	v_mfma_f32_16x16x16_f16 a[192:195], a[144:145], v[74:75], a[192:195]// 00000000A0E8: D3CD80C0 0F029590
	ds_read_b128 v[56:59], v17 offset:19712                    // 00000000A0F0: D9FE4D00 38000011
	v_mfma_f32_16x16x16_f16 a[196:199], a[146:147], v[74:75], a[196:199]// 00000000A0F8: D3CD80C4 0F129592
	v_mfma_f32_16x16x16_f16 a[200:203], a[148:149], v[74:75], a[200:203]// 00000000A100: D3CD80C8 0F229594
	ds_read_b128 v[60:63], v17 offset:20864                    // 00000000A108: D9FE5180 3C000011
	v_mfma_f32_16x16x16_f16 a[204:207], a[150:151], v[74:75], a[204:207]// 00000000A110: D3CD80CC 0F329596
	v_mfma_f32_16x16x16_f16 a[208:211], a[152:153], v[74:75], a[208:211]// 00000000A118: D3CD80D0 0F429598
	ds_read_b128 v[64:67], v17 offset:22016                    // 00000000A120: D9FE5600 40000011
	v_mfma_f32_16x16x16_f16 a[212:215], a[154:155], v[74:75], a[212:215]// 00000000A128: D3CD80D4 0F52959A
	buffer_atomic_add_f32 v138, v7, s[32:35], 0 offen offset:128// 00000000A130: E1341080 80088A07
	v_mfma_f32_16x16x16_f16 a[216:219], a[156:157], v[74:75], a[216:219]// 00000000A138: D3CD80D8 0F62959C
	ds_read_b128 v[68:71], v17 offset:23168                    // 00000000A140: D9FE5A80 44000011
	v_mfma_f32_16x16x16_f16 a[220:223], a[158:159], v[74:75], a[220:223]// 00000000A148: D3CD80DC 0F72959E
	v_mfma_f32_16x16x16_f16 a[224:227], a[144:145], v[76:77], a[224:227]// 00000000A150: D3CD80E0 0F829990
	ds_write_b32 v13, v88 offset:13056                         // 00000000A158: D81A3300 0000580D
	v_mfma_f32_16x16x16_f16 a[228:231], a[146:147], v[76:77], a[228:231]// 00000000A160: D3CD80E4 0F929992
	v_mfma_f32_16x16x16_f16 a[232:235], a[148:149], v[76:77], a[232:235]// 00000000A168: D3CD80E8 0FA29994
	ds_write_b32 v13, v89 offset:14112                         // 00000000A170: D81A3720 0000590D
	v_mfma_f32_16x16x16_f16 a[236:239], a[150:151], v[76:77], a[236:239]// 00000000A178: D3CD80EC 0FB29996
	buffer_atomic_add_f32 v139, v8, s[32:35], 0 offen offset:128// 00000000A180: E1341080 80088B08
	v_mfma_f32_16x16x16_f16 a[240:243], a[152:153], v[76:77], a[240:243]// 00000000A188: D3CD80F0 0FC29998
	ds_write_b32 v13, v90 offset:13184                         // 00000000A190: D81A3380 00005A0D
	v_mfma_f32_16x16x16_f16 a[244:247], a[154:155], v[76:77], a[244:247]// 00000000A198: D3CD80F4 0FD2999A
	v_mfma_f32_16x16x16_f16 a[248:251], a[156:157], v[76:77], a[248:251]// 00000000A1A0: D3CD80F8 0FE2999C
	ds_write_b32 v13, v91 offset:14240                         // 00000000A1A8: D81A37A0 00005B0D
	v_mfma_f32_16x16x16_f16 a[252:255], a[158:159], v[76:77], a[252:255]// 00000000A1B0: D3CD80FC 0FF2999E
	s_waitcnt vmcnt(8) lgkmcnt(4)                              // 00000000A1B8: BF8C0478
	s_barrier                                                  // 00000000A1BC: BF8A0000
	v_mfma_f32_16x16x16_f16 v[128:131], v[48:49], a[48:49], 0  // 00000000A1C0: D3CD0080 12026130
	ds_read_b128 a[144:147], v10                               // 00000000A1C8: DBFE0000 9000000A
	v_mov_b32_e32 v32, 0                                       // 00000000A1D0: 7E400280
	s_mov_b64 exec, s[86:87]                                   // 00000000A1D4: BEFE0156
	buffer_load_dword v32, v1, s[8:11], 0 idxen                // 00000000A1D8: E0502000 80022001
	s_mov_b64 exec, s[84:85]                                   // 00000000A1E0: BEFE0154
	v_mfma_f32_16x16x16_f16 v[128:131], v[50:51], a[52:53], v[128:131]// 00000000A1E4: D3CD0080 16026932
	v_cmp_eq_u32_e32 vcc, v124, v151                           // 00000000A1EC: 7D952F7C
	v_mov_b32_e32 v28, 0                                       // 00000000A1F0: 7E380280
	v_cndmask_b32_e32 v124, v124, v28, vcc                     // 00000000A1F4: 00F8397C
	v_mul_f32_e32 v124, s48, v124                              // 00000000A1F8: 0AF8F830
	s_nop 0                                                    // 00000000A1FC: BF800000
	v_mfma_f32_16x16x16_f16 v[128:131], v[52:53], a[56:57], v[128:131]// 00000000A200: D3CD0080 16027134
	ds_read_b128 a[148:151], v10 offset:512                    // 00000000A208: DBFE0200 9400000A
	v_mov_b32_e32 v33, 0                                       // 00000000A210: 7E420280
	s_mov_b64 exec, s[86:87]                                   // 00000000A214: BEFE0156
	buffer_load_dword v33, v2, s[8:11], 0 idxen                // 00000000A218: E0502000 80022102
	s_mov_b64 exec, s[84:85]                                   // 00000000A220: BEFE0154
	v_mfma_f32_16x16x16_f16 v[128:131], v[54:55], a[60:61], v[128:131]// 00000000A224: D3CD0080 16027936
	v_mfma_f32_16x16x16_f16 v[128:131], v[56:57], a[64:65], v[128:131]// 00000000A22C: D3CD0080 16028138
	ds_read_b128 a[152:155], v10 offset:2176                   // 00000000A234: DBFE0880 9800000A
	v_mov_b32_e32 v34, 0                                       // 00000000A23C: 7E440280
	s_mov_b64 exec, s[86:87]                                   // 00000000A240: BEFE0156
	buffer_load_dword v34, v3, s[8:11], 0 idxen                // 00000000A244: E0502000 80022203
	s_mov_b64 exec, s[84:85]                                   // 00000000A24C: BEFE0154
	v_mfma_f32_16x16x16_f16 v[128:131], v[58:59], a[68:69], v[128:131]// 00000000A250: D3CD0080 1602893A
	v_perm_b32 v84, v37, v36, s63                              // 00000000A258: D1ED0054 00FE4925
	v_perm_b32 v85, v37, v36, s64                              // 00000000A260: D1ED0055 01024925
	v_mfma_f32_16x16x16_f16 v[128:131], v[60:61], a[72:73], v[128:131]// 00000000A268: D3CD0080 1602913C
	ds_read_b128 a[156:159], v10 offset:2688                   // 00000000A270: DBFE0A80 9C00000A
	v_mov_b32_e32 v35, 0                                       // 00000000A278: 7E460280
	s_mov_b64 exec, s[86:87]                                   // 00000000A27C: BEFE0156
	buffer_load_dword v35, v4, s[8:11], 0 idxen                // 00000000A280: E0502000 80022304
	s_mov_b64 exec, s[84:85]                                   // 00000000A288: BEFE0154
	v_mfma_f32_16x16x16_f16 v[128:131], v[62:63], a[76:77], v[128:131]// 00000000A28C: D3CD0080 1602993E
	v_perm_b32 v86, v39, v38, s63                              // 00000000A294: D1ED0056 00FE4D27
	v_perm_b32 v87, v39, v38, s64                              // 00000000A29C: D1ED0057 01024D27
	v_mfma_f32_16x16x16_f16 v[128:131], v[64:65], a[80:81], v[128:131]// 00000000A2A4: D3CD0080 1602A140
	ds_read_b128 v[92:95], v10 offset:8704                     // 00000000A2AC: D9FE2200 5C00000A
	v_mov_b32_e32 v40, 0                                       // 00000000A2B4: 7E500280
	s_mov_b64 exec, s[86:87]                                   // 00000000A2B8: BEFE0156
	buffer_load_dword v40, v248, s[20:23], 0 idxen             // 00000000A2BC: E0502000 800528F8
	s_mov_b64 exec, s[84:85]                                   // 00000000A2C4: BEFE0154
	v_mfma_f32_16x16x16_f16 v[128:131], v[66:67], a[84:85], v[128:131]// 00000000A2C8: D3CD0080 1602A942
	v_perm_b32 v88, v45, v44, s63                              // 00000000A2D0: D1ED0058 00FE592D
	v_perm_b32 v89, v45, v44, s64                              // 00000000A2D8: D1ED0059 0102592D
	v_mfma_f32_16x16x16_f16 v[128:131], v[68:69], a[88:89], v[128:131]// 00000000A2E0: D3CD0080 1602B144
	ds_read_b128 v[96:99], v10 offset:9216                     // 00000000A2E8: D9FE2400 6000000A
	v_mov_b32_e32 v41, 0                                       // 00000000A2F0: 7E520280
	s_mov_b64 exec, s[86:87]                                   // 00000000A2F4: BEFE0156
	buffer_load_dword v41, v249, s[20:23], 0 idxen             // 00000000A2F8: E0502000 800529F9
	s_mov_b64 exec, s[84:85]                                   // 00000000A300: BEFE0154
	v_mfma_f32_16x16x16_f16 v[128:131], v[70:71], a[92:93], v[128:131]// 00000000A304: D3CD0080 1602B946
	v_perm_b32 v90, v47, v46, s63                              // 00000000A30C: D1ED005A 00FE5D2F
	v_perm_b32 v91, v47, v46, s64                              // 00000000A314: D1ED005B 01025D2F
	v_mfma_f32_16x16x16_f16 v[132:135], v[48:49], a[50:51], 0  // 00000000A31C: D3CD0084 12026530
	ds_read_b128 v[100:103], v10 offset:10880                  // 00000000A324: D9FE2A80 6400000A
	v_mov_b32_e32 v42, 0                                       // 00000000A32C: 7E540280
	s_mov_b64 exec, s[86:87]                                   // 00000000A330: BEFE0156
	buffer_load_dword v42, v250, s[20:23], 0 idxen             // 00000000A334: E0502000 80052AFA
	s_mov_b64 exec, s[84:85]                                   // 00000000A33C: BEFE0154
	v_mfma_f32_16x16x16_f16 v[132:135], v[50:51], a[54:55], v[132:135]// 00000000A340: D3CD0084 16126D32
	v_mov_b32_dpp v127, v124 quad_perm:[3,3,3,3] row_mask:0xf bank_mask:0xf// 00000000A348: 7EFE02FA FF00FF7C
	v_mov_b32_dpp v126, v124 quad_perm:[2,2,2,2] row_mask:0xf bank_mask:0xf// 00000000A350: 7EFC02FA FF00AA7C
	v_mfma_f32_16x16x16_f16 v[132:135], v[52:53], a[58:59], v[132:135]// 00000000A358: D3CD0084 16127534
	ds_read_b128 v[104:107], v10 offset:11392                  // 00000000A360: D9FE2C80 6800000A
	v_mov_b32_e32 v43, 0                                       // 00000000A368: 7E560280
	s_mov_b64 exec, s[86:87]                                   // 00000000A36C: BEFE0156
	buffer_load_dword v43, v251, s[20:23], 0 idxen             // 00000000A370: E0502000 80052BFB
	s_mov_b64 exec, s[84:85]                                   // 00000000A378: BEFE0154
	v_mfma_f32_16x16x16_f16 v[132:135], v[54:55], a[62:63], v[132:135]// 00000000A37C: D3CD0084 16127D36
	v_mov_b32_dpp v125, v124 quad_perm:[1,1,1,1] row_mask:0xf bank_mask:0xf// 00000000A384: 7EFA02FA FF00557C
	v_mov_b32_dpp v124, v124 quad_perm:[0,0,0,0] row_mask:0xf bank_mask:0xf// 00000000A38C: 7EF802FA FF00007C
	s_add_u32 s60, 64, s59                                     // 00000000A394: 803C3BC0
	v_mfma_f32_16x16x16_f16 v[132:135], v[56:57], a[66:67], v[132:135]// 00000000A398: D3CD0084 16128538
	buffer_load_dword v9, s[24:27], 0 idxen lds                // 00000000A3A0: E0512000 80060009
	v_mfma_f32_16x16x16_f16 v[132:135], v[58:59], a[70:71], v[132:135]// 00000000A3A8: D3CD0084 16128D3A
	s_cmp_lt_u32 s60, s58                                      // 00000000A3B0: BF0A3A3C
	s_cselect_b32 s68, s68, 0                                  // 00000000A3B4: 85448044
	s_cselect_b32 s95, s95, 0                                  // 00000000A3B8: 855F805F
	s_cselect_b32 s69, s69, 0                                  // 00000000A3BC: 85458045
	v_mfma_f32_16x16x16_f16 v[132:135], v[60:61], a[74:75], v[132:135]// 00000000A3C0: D3CD0084 1612953C
	v_add_u32_e32 v1, s68, v1                                  // 00000000A3C8: 68020244
	v_add_u32_e32 v2, s68, v2                                  // 00000000A3CC: 68040444
	v_add_u32_e32 v3, s68, v3                                  // 00000000A3D0: 68060644
	v_add_u32_e32 v4, s68, v4                                  // 00000000A3D4: 68080844
	v_mfma_f32_16x16x16_f16 v[132:135], v[62:63], a[78:79], v[132:135]// 00000000A3D8: D3CD0084 16129D3E
	v_add_u32_e32 v248, s95, v248                              // 00000000A3E0: 69F1F05F
	v_add_u32_e32 v249, s95, v249                              // 00000000A3E4: 69F3F25F
	v_add_u32_e32 v250, s95, v250                              // 00000000A3E8: 69F5F45F
	v_add_u32_e32 v251, s95, v251                              // 00000000A3EC: 69F7F65F
	v_mfma_f32_16x16x16_f16 v[132:135], v[64:65], a[82:83], v[132:135]// 00000000A3F0: D3CD0084 1612A540
	s_mov_b32 m0, s75                                          // 00000000A3F8: BEFC004B
	v_add_u32_e32 v9, s69, v9                                  // 00000000A3FC: 68121245
	v_mfma_f32_16x16x16_f16 v[132:135], v[66:67], a[86:87], v[132:135]// 00000000A400: D3CD0084 1612AD42
	s_cmp_ge_u32 s59, s99                                      // 00000000A408: BF09633B
	s_cselect_b32 s66, s67, s66                                // 00000000A40C: 85424243
	v_mfma_f32_16x16x16_f16 v[132:135], v[68:69], a[90:91], v[132:135]// 00000000A410: D3CD0084 1612B544
	s_addk_i32 s59, 0x10                                       // 00000000A418: B73B0010
	s_nop 0                                                    // 00000000A41C: BF800000
	s_cmp_lt_i32 s59, s58                                      // 00000000A420: BF043A3B
	v_mfma_f32_16x16x16_f16 v[132:135], v[70:71], a[94:95], v[132:135]// 00000000A424: D3CD0084 1612BD46
	s_cbranch_scc0 label_11C3                                  // 00000000A42C: BF84F82B
	s_branch label_11C6                                        // 00000000A430: BF82F82D

000000000000a434 <label_19A5>:
	buffer_atomic_add_f32 v140, v7, s[32:35], 0 offen offset:256// 00000000A434: E1341100 80088C07
	buffer_atomic_add_f32 v141, v8, s[32:35], 0 offen offset:256// 00000000A43C: E1341100 80088D08
	buffer_atomic_add_f32 v142, v7, s[32:35], 0 offen offset:384// 00000000A444: E1341180 80088E07
	buffer_atomic_add_f32 v143, v8, s[32:35], 0 offen offset:384// 00000000A44C: E1341180 80088F08
	v_add_u32_e32 v7, s66, v7                                  // 00000000A454: 680E0E42
	v_add_u32_e32 v8, s66, v8                                  // 00000000A458: 68101042
	v_lshrrev_b32_e32 v28, 5, v0                               // 00000000A45C: 20380085
	v_mul_i32_i24_e32 v25, 0x42, v28                           // 00000000A460: 0C3238FF 00000042
	v_and_b32_e32 v28, 31, v0                                  // 00000000A468: 2638009F
	v_mul_i32_i24_e32 v29, 2, v28                              // 00000000A46C: 0C3A3882
	v_add_u32_e32 v25, v29, v25                                // 00000000A470: 6832331D
	s_mul_i32 s60, s46, 0x420                                  // 00000000A474: 923CFF2E 00000420
	v_add_u32_e32 v25, s60, v25                                // 00000000A47C: 6832323C
	v_lshlrev_b32_e32 v25, 2, v25                              // 00000000A480: 24323282
	v_mul_f32_e32 v128, s47, v128                              // 00000000A484: 0B01002F
	v_mul_f32_e32 v129, s47, v129                              // 00000000A488: 0B03022F
	v_mul_f32_e32 v130, s47, v130                              // 00000000A48C: 0B05042F
	v_mul_f32_e32 v131, s47, v131                              // 00000000A490: 0B07062F
	v_mul_f32_e32 v132, s47, v132                              // 00000000A494: 0B09082F
	v_mul_f32_e32 v133, s47, v133                              // 00000000A498: 0B0B0A2F
	v_mul_f32_e32 v134, s47, v134                              // 00000000A49C: 0B0D0C2F
	v_mul_f32_e32 v135, s47, v135                              // 00000000A4A0: 0B0F0E2F
	ds_write_b64 v20, v[128:129] offset:24320                  // 00000000A4A4: D89A5F00 00008014
	ds_write_b64 v20, v[130:131] offset:24832                  // 00000000A4AC: D89A6100 00008214
	ds_write_b64 v20, v[132:133] offset:25344                  // 00000000A4B4: D89A6300 00008414
	ds_write_b64 v20, v[134:135] offset:25856                  // 00000000A4BC: D89A6500 00008614
	s_waitcnt lgkmcnt(0)                                       // 00000000A4C4: BF8CC07F
	s_barrier                                                  // 00000000A4C8: BF8A0000
	ds_read_b64 v[136:137], v19 offset:24320                   // 00000000A4CC: D8EC5F00 88000013
	ds_read_b64 v[138:139], v19 offset:26368                   // 00000000A4D4: D8EC6700 8A000013
	ds_read_b64 v[140:141], v19 offset:28416                   // 00000000A4DC: D8EC6F00 8C000013
	ds_read_b64 v[142:143], v19 offset:30464                   // 00000000A4E4: D8EC7700 8E000013
	s_waitcnt lgkmcnt(0)                                       // 00000000A4EC: BF8CC07F
	s_barrier                                                  // 00000000A4F0: BF8A0000
	buffer_atomic_add_f32 v136, v7, s[32:35], 0 offen          // 00000000A4F4: E1341000 80088807
	buffer_atomic_add_f32 v137, v8, s[32:35], 0 offen          // 00000000A4FC: E1341000 80088908
	buffer_atomic_add_f32 v138, v7, s[32:35], 0 offen offset:128// 00000000A504: E1341080 80088A07
	buffer_atomic_add_f32 v139, v8, s[32:35], 0 offen offset:128// 00000000A50C: E1341080 80088B08
	buffer_atomic_add_f32 v140, v7, s[32:35], 0 offen offset:256// 00000000A514: E1341100 80088C07
	buffer_atomic_add_f32 v141, v8, s[32:35], 0 offen offset:256// 00000000A51C: E1341100 80088D08
	buffer_atomic_add_f32 v142, v7, s[32:35], 0 offen offset:384// 00000000A524: E1341180 80088E07
	buffer_atomic_add_f32 v143, v8, s[32:35], 0 offen offset:384// 00000000A52C: E1341180 80088F08
	v_lshrrev_b32_e32 v28, 4, v0                               // 00000000A534: 20380084
	v_mul_i32_i24_e32 v24, 2, v28                              // 00000000A538: 0C303882
	v_and_b32_e32 v28, 15, v0                                  // 00000000A53C: 2638008F
	v_mul_i32_i24_e32 v29, 0x42, v28                           // 00000000A540: 0C3A38FF 00000042
	v_add_u32_e32 v24, v29, v24                                // 00000000A548: 6830311D
	s_mul_i32 s60, s46, 0x420                                  // 00000000A54C: 923CFF2E 00000420
	v_add_u32_e32 v24, s60, v24                                // 00000000A554: 6830303C
	v_lshlrev_b32_e32 v24, 2, v24                              // 00000000A558: 24303082
	v_accvgpr_read_b32 v28, a160                               // 00000000A55C: D3D8401C 180001A0
	v_accvgpr_read_b32 v29, a161                               // 00000000A564: D3D8401D 180001A1
	v_mul_f32_e32 v28, s47, v28                                // 00000000A56C: 0A38382F
	v_mul_f32_e32 v29, s47, v29                                // 00000000A570: 0A3A3A2F
	v_cvt_pkrtz_f16_f32 v48, v28, v29                          // 00000000A574: D2960030 00023B1C
	v_accvgpr_read_b32 v28, a162                               // 00000000A57C: D3D8401C 180001A2
	v_accvgpr_read_b32 v29, a163                               // 00000000A584: D3D8401D 180001A3
	v_mul_f32_e32 v28, s47, v28                                // 00000000A58C: 0A38382F
	v_mul_f32_e32 v29, s47, v29                                // 00000000A590: 0A3A3A2F
	v_cvt_pkrtz_f16_f32 v49, v28, v29                          // 00000000A594: D2960031 00023B1C
	v_accvgpr_read_b32 v28, a164                               // 00000000A59C: D3D8401C 180001A4
	v_accvgpr_read_b32 v29, a165                               // 00000000A5A4: D3D8401D 180001A5
	v_mul_f32_e32 v28, s47, v28                                // 00000000A5AC: 0A38382F
	v_mul_f32_e32 v29, s47, v29                                // 00000000A5B0: 0A3A3A2F
	v_cvt_pkrtz_f16_f32 v50, v28, v29                          // 00000000A5B4: D2960032 00023B1C
	v_accvgpr_read_b32 v28, a166                               // 00000000A5BC: D3D8401C 180001A6
	v_accvgpr_read_b32 v29, a167                               // 00000000A5C4: D3D8401D 180001A7
	v_mul_f32_e32 v28, s47, v28                                // 00000000A5CC: 0A38382F
	v_mul_f32_e32 v29, s47, v29                                // 00000000A5D0: 0A3A3A2F
	v_cvt_pkrtz_f16_f32 v51, v28, v29                          // 00000000A5D4: D2960033 00023B1C
	v_accvgpr_read_b32 v28, a168                               // 00000000A5DC: D3D8401C 180001A8
	v_accvgpr_read_b32 v29, a169                               // 00000000A5E4: D3D8401D 180001A9
	v_mul_f32_e32 v28, s47, v28                                // 00000000A5EC: 0A38382F
	v_mul_f32_e32 v29, s47, v29                                // 00000000A5F0: 0A3A3A2F
	v_cvt_pkrtz_f16_f32 v52, v28, v29                          // 00000000A5F4: D2960034 00023B1C
	v_accvgpr_read_b32 v28, a170                               // 00000000A5FC: D3D8401C 180001AA
	v_accvgpr_read_b32 v29, a171                               // 00000000A604: D3D8401D 180001AB
	v_mul_f32_e32 v28, s47, v28                                // 00000000A60C: 0A38382F
	v_mul_f32_e32 v29, s47, v29                                // 00000000A610: 0A3A3A2F
	v_cvt_pkrtz_f16_f32 v53, v28, v29                          // 00000000A614: D2960035 00023B1C
	v_accvgpr_read_b32 v28, a172                               // 00000000A61C: D3D8401C 180001AC
	v_accvgpr_read_b32 v29, a173                               // 00000000A624: D3D8401D 180001AD
	v_mul_f32_e32 v28, s47, v28                                // 00000000A62C: 0A38382F
	v_mul_f32_e32 v29, s47, v29                                // 00000000A630: 0A3A3A2F
	v_cvt_pkrtz_f16_f32 v54, v28, v29                          // 00000000A634: D2960036 00023B1C
	v_accvgpr_read_b32 v28, a174                               // 00000000A63C: D3D8401C 180001AE
	v_accvgpr_read_b32 v29, a175                               // 00000000A644: D3D8401D 180001AF
	v_mul_f32_e32 v28, s47, v28                                // 00000000A64C: 0A38382F
	v_mul_f32_e32 v29, s47, v29                                // 00000000A650: 0A3A3A2F
	v_cvt_pkrtz_f16_f32 v55, v28, v29                          // 00000000A654: D2960037 00023B1C
	v_accvgpr_read_b32 v28, a176                               // 00000000A65C: D3D8401C 180001B0
	v_accvgpr_read_b32 v29, a177                               // 00000000A664: D3D8401D 180001B1
	v_mul_f32_e32 v28, s47, v28                                // 00000000A66C: 0A38382F
	v_mul_f32_e32 v29, s47, v29                                // 00000000A670: 0A3A3A2F
	v_cvt_pkrtz_f16_f32 v56, v28, v29                          // 00000000A674: D2960038 00023B1C
	v_accvgpr_read_b32 v28, a178                               // 00000000A67C: D3D8401C 180001B2
	v_accvgpr_read_b32 v29, a179                               // 00000000A684: D3D8401D 180001B3
	v_mul_f32_e32 v28, s47, v28                                // 00000000A68C: 0A38382F
	v_mul_f32_e32 v29, s47, v29                                // 00000000A690: 0A3A3A2F
	v_cvt_pkrtz_f16_f32 v57, v28, v29                          // 00000000A694: D2960039 00023B1C
	v_accvgpr_read_b32 v28, a180                               // 00000000A69C: D3D8401C 180001B4
	v_accvgpr_read_b32 v29, a181                               // 00000000A6A4: D3D8401D 180001B5
	v_mul_f32_e32 v28, s47, v28                                // 00000000A6AC: 0A38382F
	v_mul_f32_e32 v29, s47, v29                                // 00000000A6B0: 0A3A3A2F
	v_cvt_pkrtz_f16_f32 v58, v28, v29                          // 00000000A6B4: D296003A 00023B1C
	v_accvgpr_read_b32 v28, a182                               // 00000000A6BC: D3D8401C 180001B6
	v_accvgpr_read_b32 v29, a183                               // 00000000A6C4: D3D8401D 180001B7
	v_mul_f32_e32 v28, s47, v28                                // 00000000A6CC: 0A38382F
	v_mul_f32_e32 v29, s47, v29                                // 00000000A6D0: 0A3A3A2F
	v_cvt_pkrtz_f16_f32 v59, v28, v29                          // 00000000A6D4: D296003B 00023B1C
	v_accvgpr_read_b32 v28, a184                               // 00000000A6DC: D3D8401C 180001B8
	v_accvgpr_read_b32 v29, a185                               // 00000000A6E4: D3D8401D 180001B9
	v_mul_f32_e32 v28, s47, v28                                // 00000000A6EC: 0A38382F
	v_mul_f32_e32 v29, s47, v29                                // 00000000A6F0: 0A3A3A2F
	v_cvt_pkrtz_f16_f32 v60, v28, v29                          // 00000000A6F4: D296003C 00023B1C
	v_accvgpr_read_b32 v28, a186                               // 00000000A6FC: D3D8401C 180001BA
	v_accvgpr_read_b32 v29, a187                               // 00000000A704: D3D8401D 180001BB
	v_mul_f32_e32 v28, s47, v28                                // 00000000A70C: 0A38382F
	v_mul_f32_e32 v29, s47, v29                                // 00000000A710: 0A3A3A2F
	v_cvt_pkrtz_f16_f32 v61, v28, v29                          // 00000000A714: D296003D 00023B1C
	v_accvgpr_read_b32 v28, a188                               // 00000000A71C: D3D8401C 180001BC
	v_accvgpr_read_b32 v29, a189                               // 00000000A724: D3D8401D 180001BD
	v_mul_f32_e32 v28, s47, v28                                // 00000000A72C: 0A38382F
	v_mul_f32_e32 v29, s47, v29                                // 00000000A730: 0A3A3A2F
	v_cvt_pkrtz_f16_f32 v62, v28, v29                          // 00000000A734: D296003E 00023B1C
	v_accvgpr_read_b32 v28, a190                               // 00000000A73C: D3D8401C 180001BE
	v_accvgpr_read_b32 v29, a191                               // 00000000A744: D3D8401D 180001BF
	v_mul_f32_e32 v28, s47, v28                                // 00000000A74C: 0A38382F
	v_mul_f32_e32 v29, s47, v29                                // 00000000A750: 0A3A3A2F
	v_cvt_pkrtz_f16_f32 v63, v28, v29                          // 00000000A754: D296003F 00023B1C
	ds_write_b64 v25, v[48:49]                                 // 00000000A75C: D89A0000 00003019
	ds_write_b64 v25, v[50:51] offset:528                      // 00000000A764: D89A0210 00003219
	ds_write_b64 v25, v[52:53] offset:1056                     // 00000000A76C: D89A0420 00003419
	ds_write_b64 v25, v[54:55] offset:1584                     // 00000000A774: D89A0630 00003619
	ds_write_b64 v25, v[56:57] offset:2112                     // 00000000A77C: D89A0840 00003819
	ds_write_b64 v25, v[58:59] offset:2640                     // 00000000A784: D89A0A50 00003A19
	ds_write_b64 v25, v[60:61] offset:3168                     // 00000000A78C: D89A0C60 00003C19
	ds_write_b64 v25, v[62:63] offset:3696                     // 00000000A794: D89A0E70 00003E19
	s_waitcnt lgkmcnt(0)                                       // 00000000A79C: BF8CC07F
	s_barrier                                                  // 00000000A7A0: BF8A0000
	ds_read_b64 v[48:49], v24                                  // 00000000A7A4: D8EC0000 30000018
	ds_read_b64 v[50:51], v24 offset:128                       // 00000000A7AC: D8EC0080 32000018
	ds_read_b64 v[52:53], v24 offset:32                        // 00000000A7B4: D8EC0020 34000018
	ds_read_b64 v[54:55], v24 offset:160                       // 00000000A7BC: D8EC00A0 36000018
	ds_read_b64 v[56:57], v24 offset:64                        // 00000000A7C4: D8EC0040 38000018
	ds_read_b64 v[58:59], v24 offset:192                       // 00000000A7CC: D8EC00C0 3A000018
	ds_read_b64 v[60:61], v24 offset:96                        // 00000000A7D4: D8EC0060 3C000018
	ds_read_b64 v[62:63], v24 offset:224                       // 00000000A7DC: D8EC00E0 3E000018
	s_waitcnt lgkmcnt(0)                                       // 00000000A7E4: BF8CC07F
	s_mov_b32 s70, s52                                         // 00000000A7E8: BEC60034
	s_mov_b64 exec, s[88:89]                                   // 00000000A7EC: BEFE0158
	buffer_store_dwordx4 v[48:51], v5, s[36:39], 0 idxen       // 00000000A7F0: E07C2000 80093005
	s_mov_b64 exec, s[84:85]                                   // 00000000A7F8: BEFE0154
	v_add_u32_e32 v5, s70, v5                                  // 00000000A7FC: 680A0A46
	s_mov_b64 exec, s[88:89]                                   // 00000000A800: BEFE0158
	buffer_store_dwordx4 v[52:55], v5, s[36:39], 0 idxen       // 00000000A804: E07C2000 80093405
	s_mov_b64 exec, s[84:85]                                   // 00000000A80C: BEFE0154
	v_add_u32_e32 v5, s70, v5                                  // 00000000A810: 680A0A46
	s_mov_b64 exec, s[88:89]                                   // 00000000A814: BEFE0158
	buffer_store_dwordx4 v[56:59], v5, s[36:39], 0 idxen       // 00000000A818: E07C2000 80093805
	s_mov_b64 exec, s[84:85]                                   // 00000000A820: BEFE0154
	v_add_u32_e32 v5, s70, v5                                  // 00000000A824: 680A0A46
	s_mov_b64 exec, s[88:89]                                   // 00000000A828: BEFE0158
	buffer_store_dwordx4 v[60:63], v5, s[36:39], 0 idxen       // 00000000A82C: E07C2000 80093C05
	s_mov_b64 exec, s[84:85]                                   // 00000000A834: BEFE0154
	v_add_u32_e32 v5, s70, v5                                  // 00000000A838: 680A0A46
	s_mul_i32 s60, 12, s70                                     // 00000000A83C: 923C468C
	v_add_u32_e32 v5, s60, v5                                  // 00000000A840: 680A0A3C
	s_barrier                                                  // 00000000A844: BF8A0000
	s_cmp_ge_i32 1, s73                                        // 00000000A848: BF034981
	s_cbranch_scc1 label_1C26                                  // 00000000A84C: BF85017A
	v_accvgpr_read_b32 v28, a192                               // 00000000A850: D3D8401C 180001C0
	v_accvgpr_read_b32 v29, a193                               // 00000000A858: D3D8401D 180001C1
	v_mul_f32_e32 v28, s47, v28                                // 00000000A860: 0A38382F
	v_mul_f32_e32 v29, s47, v29                                // 00000000A864: 0A3A3A2F
	v_cvt_pkrtz_f16_f32 v64, v28, v29                          // 00000000A868: D2960040 00023B1C
	v_accvgpr_read_b32 v28, a194                               // 00000000A870: D3D8401C 180001C2
	v_accvgpr_read_b32 v29, a195                               // 00000000A878: D3D8401D 180001C3
	v_mul_f32_e32 v28, s47, v28                                // 00000000A880: 0A38382F
	v_mul_f32_e32 v29, s47, v29                                // 00000000A884: 0A3A3A2F
	v_cvt_pkrtz_f16_f32 v65, v28, v29                          // 00000000A888: D2960041 00023B1C
	v_accvgpr_read_b32 v28, a196                               // 00000000A890: D3D8401C 180001C4
	v_accvgpr_read_b32 v29, a197                               // 00000000A898: D3D8401D 180001C5
	v_mul_f32_e32 v28, s47, v28                                // 00000000A8A0: 0A38382F
	v_mul_f32_e32 v29, s47, v29                                // 00000000A8A4: 0A3A3A2F
	v_cvt_pkrtz_f16_f32 v66, v28, v29                          // 00000000A8A8: D2960042 00023B1C
	v_accvgpr_read_b32 v28, a198                               // 00000000A8B0: D3D8401C 180001C6
	v_accvgpr_read_b32 v29, a199                               // 00000000A8B8: D3D8401D 180001C7
	v_mul_f32_e32 v28, s47, v28                                // 00000000A8C0: 0A38382F
	v_mul_f32_e32 v29, s47, v29                                // 00000000A8C4: 0A3A3A2F
	v_cvt_pkrtz_f16_f32 v67, v28, v29                          // 00000000A8C8: D2960043 00023B1C
	v_accvgpr_read_b32 v28, a200                               // 00000000A8D0: D3D8401C 180001C8
	v_accvgpr_read_b32 v29, a201                               // 00000000A8D8: D3D8401D 180001C9
	v_mul_f32_e32 v28, s47, v28                                // 00000000A8E0: 0A38382F
	v_mul_f32_e32 v29, s47, v29                                // 00000000A8E4: 0A3A3A2F
	v_cvt_pkrtz_f16_f32 v68, v28, v29                          // 00000000A8E8: D2960044 00023B1C
	v_accvgpr_read_b32 v28, a202                               // 00000000A8F0: D3D8401C 180001CA
	v_accvgpr_read_b32 v29, a203                               // 00000000A8F8: D3D8401D 180001CB
	v_mul_f32_e32 v28, s47, v28                                // 00000000A900: 0A38382F
	v_mul_f32_e32 v29, s47, v29                                // 00000000A904: 0A3A3A2F
	v_cvt_pkrtz_f16_f32 v69, v28, v29                          // 00000000A908: D2960045 00023B1C
	v_accvgpr_read_b32 v28, a204                               // 00000000A910: D3D8401C 180001CC
	v_accvgpr_read_b32 v29, a205                               // 00000000A918: D3D8401D 180001CD
	v_mul_f32_e32 v28, s47, v28                                // 00000000A920: 0A38382F
	v_mul_f32_e32 v29, s47, v29                                // 00000000A924: 0A3A3A2F
	v_cvt_pkrtz_f16_f32 v70, v28, v29                          // 00000000A928: D2960046 00023B1C
	v_accvgpr_read_b32 v28, a206                               // 00000000A930: D3D8401C 180001CE
	v_accvgpr_read_b32 v29, a207                               // 00000000A938: D3D8401D 180001CF
	v_mul_f32_e32 v28, s47, v28                                // 00000000A940: 0A38382F
	v_mul_f32_e32 v29, s47, v29                                // 00000000A944: 0A3A3A2F
	v_cvt_pkrtz_f16_f32 v71, v28, v29                          // 00000000A948: D2960047 00023B1C
	v_accvgpr_read_b32 v28, a208                               // 00000000A950: D3D8401C 180001D0
	v_accvgpr_read_b32 v29, a209                               // 00000000A958: D3D8401D 180001D1
	v_mul_f32_e32 v28, s47, v28                                // 00000000A960: 0A38382F
	v_mul_f32_e32 v29, s47, v29                                // 00000000A964: 0A3A3A2F
	v_cvt_pkrtz_f16_f32 v72, v28, v29                          // 00000000A968: D2960048 00023B1C
	v_accvgpr_read_b32 v28, a210                               // 00000000A970: D3D8401C 180001D2
	v_accvgpr_read_b32 v29, a211                               // 00000000A978: D3D8401D 180001D3
	v_mul_f32_e32 v28, s47, v28                                // 00000000A980: 0A38382F
	v_mul_f32_e32 v29, s47, v29                                // 00000000A984: 0A3A3A2F
	v_cvt_pkrtz_f16_f32 v73, v28, v29                          // 00000000A988: D2960049 00023B1C
	v_accvgpr_read_b32 v28, a212                               // 00000000A990: D3D8401C 180001D4
	v_accvgpr_read_b32 v29, a213                               // 00000000A998: D3D8401D 180001D5
	v_mul_f32_e32 v28, s47, v28                                // 00000000A9A0: 0A38382F
	v_mul_f32_e32 v29, s47, v29                                // 00000000A9A4: 0A3A3A2F
	v_cvt_pkrtz_f16_f32 v74, v28, v29                          // 00000000A9A8: D296004A 00023B1C
	v_accvgpr_read_b32 v28, a214                               // 00000000A9B0: D3D8401C 180001D6
	v_accvgpr_read_b32 v29, a215                               // 00000000A9B8: D3D8401D 180001D7
	v_mul_f32_e32 v28, s47, v28                                // 00000000A9C0: 0A38382F
	v_mul_f32_e32 v29, s47, v29                                // 00000000A9C4: 0A3A3A2F
	v_cvt_pkrtz_f16_f32 v75, v28, v29                          // 00000000A9C8: D296004B 00023B1C
	v_accvgpr_read_b32 v28, a216                               // 00000000A9D0: D3D8401C 180001D8
	v_accvgpr_read_b32 v29, a217                               // 00000000A9D8: D3D8401D 180001D9
	v_mul_f32_e32 v28, s47, v28                                // 00000000A9E0: 0A38382F
	v_mul_f32_e32 v29, s47, v29                                // 00000000A9E4: 0A3A3A2F
	v_cvt_pkrtz_f16_f32 v76, v28, v29                          // 00000000A9E8: D296004C 00023B1C
	v_accvgpr_read_b32 v28, a218                               // 00000000A9F0: D3D8401C 180001DA
	v_accvgpr_read_b32 v29, a219                               // 00000000A9F8: D3D8401D 180001DB
	v_mul_f32_e32 v28, s47, v28                                // 00000000AA00: 0A38382F
	v_mul_f32_e32 v29, s47, v29                                // 00000000AA04: 0A3A3A2F
	v_cvt_pkrtz_f16_f32 v77, v28, v29                          // 00000000AA08: D296004D 00023B1C
	v_accvgpr_read_b32 v28, a220                               // 00000000AA10: D3D8401C 180001DC
	v_accvgpr_read_b32 v29, a221                               // 00000000AA18: D3D8401D 180001DD
	v_mul_f32_e32 v28, s47, v28                                // 00000000AA20: 0A38382F
	v_mul_f32_e32 v29, s47, v29                                // 00000000AA24: 0A3A3A2F
	v_cvt_pkrtz_f16_f32 v78, v28, v29                          // 00000000AA28: D296004E 00023B1C
	v_accvgpr_read_b32 v28, a222                               // 00000000AA30: D3D8401C 180001DE
	v_accvgpr_read_b32 v29, a223                               // 00000000AA38: D3D8401D 180001DF
	v_mul_f32_e32 v28, s47, v28                                // 00000000AA40: 0A38382F
	v_mul_f32_e32 v29, s47, v29                                // 00000000AA44: 0A3A3A2F
	v_cvt_pkrtz_f16_f32 v79, v28, v29                          // 00000000AA48: D296004F 00023B1C
	ds_write_b64 v25, v[64:65] offset:16896                    // 00000000AA50: D89A4200 00004019
	ds_write_b64 v25, v[66:67] offset:17424                    // 00000000AA58: D89A4410 00004219
	ds_write_b64 v25, v[68:69] offset:17952                    // 00000000AA60: D89A4620 00004419
	ds_write_b64 v25, v[70:71] offset:18480                    // 00000000AA68: D89A4830 00004619
	ds_write_b64 v25, v[72:73] offset:19008                    // 00000000AA70: D89A4A40 00004819
	ds_write_b64 v25, v[74:75] offset:19536                    // 00000000AA78: D89A4C50 00004A19
	ds_write_b64 v25, v[76:77] offset:20064                    // 00000000AA80: D89A4E60 00004C19
	ds_write_b64 v25, v[78:79] offset:20592                    // 00000000AA88: D89A5070 00004E19
	s_waitcnt lgkmcnt(0)                                       // 00000000AA90: BF8CC07F
	s_barrier                                                  // 00000000AA94: BF8A0000
	ds_read_b64 v[64:65], v24 offset:16896                     // 00000000AA98: D8EC4200 40000018
	ds_read_b64 v[66:67], v24 offset:17024                     // 00000000AAA0: D8EC4280 42000018
	ds_read_b64 v[68:69], v24 offset:16928                     // 00000000AAA8: D8EC4220 44000018
	ds_read_b64 v[70:71], v24 offset:17056                     // 00000000AAB0: D8EC42A0 46000018
	ds_read_b64 v[72:73], v24 offset:16960                     // 00000000AAB8: D8EC4240 48000018
	ds_read_b64 v[74:75], v24 offset:17088                     // 00000000AAC0: D8EC42C0 4A000018
	ds_read_b64 v[76:77], v24 offset:16992                     // 00000000AAC8: D8EC4260 4C000018
	ds_read_b64 v[78:79], v24 offset:17120                     // 00000000AAD0: D8EC42E0 4E000018
	s_waitcnt lgkmcnt(0)                                       // 00000000AAD8: BF8CC07F
	s_mov_b32 s70, s52                                         // 00000000AADC: BEC60034
	s_mov_b64 exec, s[88:89]                                   // 00000000AAE0: BEFE0158
	buffer_store_dwordx4 v[64:67], v5, s[36:39], 0 idxen       // 00000000AAE4: E07C2000 80094005
	s_mov_b64 exec, s[84:85]                                   // 00000000AAEC: BEFE0154
	v_add_u32_e32 v5, s70, v5                                  // 00000000AAF0: 680A0A46
	s_mov_b64 exec, s[88:89]                                   // 00000000AAF4: BEFE0158
	buffer_store_dwordx4 v[68:71], v5, s[36:39], 0 idxen       // 00000000AAF8: E07C2000 80094405
	s_mov_b64 exec, s[84:85]                                   // 00000000AB00: BEFE0154
	v_add_u32_e32 v5, s70, v5                                  // 00000000AB04: 680A0A46
	s_mov_b64 exec, s[88:89]                                   // 00000000AB08: BEFE0158
	buffer_store_dwordx4 v[72:75], v5, s[36:39], 0 idxen       // 00000000AB0C: E07C2000 80094805
	s_mov_b64 exec, s[84:85]                                   // 00000000AB14: BEFE0154
	v_add_u32_e32 v5, s70, v5                                  // 00000000AB18: 680A0A46
	s_mov_b64 exec, s[88:89]                                   // 00000000AB1C: BEFE0158
	buffer_store_dwordx4 v[76:79], v5, s[36:39], 0 idxen       // 00000000AB20: E07C2000 80094C05
	s_mov_b64 exec, s[84:85]                                   // 00000000AB28: BEFE0154
	v_add_u32_e32 v5, s70, v5                                  // 00000000AB2C: 680A0A46
	s_mul_i32 s60, 12, s70                                     // 00000000AB30: 923C468C
	v_add_u32_e32 v5, s60, v5                                  // 00000000AB34: 680A0A3C
	s_barrier                                                  // 00000000AB38: BF8A0000
	s_cmp_ge_i32 2, s73                                        // 00000000AB3C: BF034982
	s_cbranch_scc1 label_1C26                                  // 00000000AB40: BF8500BD
	v_accvgpr_read_b32 v28, a224                               // 00000000AB44: D3D8401C 180001E0
	v_accvgpr_read_b32 v29, a225                               // 00000000AB4C: D3D8401D 180001E1
	v_mul_f32_e32 v28, s47, v28                                // 00000000AB54: 0A38382F
	v_mul_f32_e32 v29, s47, v29                                // 00000000AB58: 0A3A3A2F
	v_cvt_pkrtz_f16_f32 v80, v28, v29                          // 00000000AB5C: D2960050 00023B1C
	v_accvgpr_read_b32 v28, a226                               // 00000000AB64: D3D8401C 180001E2
	v_accvgpr_read_b32 v29, a227                               // 00000000AB6C: D3D8401D 180001E3
	v_mul_f32_e32 v28, s47, v28                                // 00000000AB74: 0A38382F
	v_mul_f32_e32 v29, s47, v29                                // 00000000AB78: 0A3A3A2F
	v_cvt_pkrtz_f16_f32 v81, v28, v29                          // 00000000AB7C: D2960051 00023B1C
	v_accvgpr_read_b32 v28, a228                               // 00000000AB84: D3D8401C 180001E4
	v_accvgpr_read_b32 v29, a229                               // 00000000AB8C: D3D8401D 180001E5
	v_mul_f32_e32 v28, s47, v28                                // 00000000AB94: 0A38382F
	v_mul_f32_e32 v29, s47, v29                                // 00000000AB98: 0A3A3A2F
	v_cvt_pkrtz_f16_f32 v82, v28, v29                          // 00000000AB9C: D2960052 00023B1C
	v_accvgpr_read_b32 v28, a230                               // 00000000ABA4: D3D8401C 180001E6
	v_accvgpr_read_b32 v29, a231                               // 00000000ABAC: D3D8401D 180001E7
	v_mul_f32_e32 v28, s47, v28                                // 00000000ABB4: 0A38382F
	v_mul_f32_e32 v29, s47, v29                                // 00000000ABB8: 0A3A3A2F
	v_cvt_pkrtz_f16_f32 v83, v28, v29                          // 00000000ABBC: D2960053 00023B1C
	v_accvgpr_read_b32 v28, a232                               // 00000000ABC4: D3D8401C 180001E8
	v_accvgpr_read_b32 v29, a233                               // 00000000ABCC: D3D8401D 180001E9
	v_mul_f32_e32 v28, s47, v28                                // 00000000ABD4: 0A38382F
	v_mul_f32_e32 v29, s47, v29                                // 00000000ABD8: 0A3A3A2F
	v_cvt_pkrtz_f16_f32 v84, v28, v29                          // 00000000ABDC: D2960054 00023B1C
	v_accvgpr_read_b32 v28, a234                               // 00000000ABE4: D3D8401C 180001EA
	v_accvgpr_read_b32 v29, a235                               // 00000000ABEC: D3D8401D 180001EB
	v_mul_f32_e32 v28, s47, v28                                // 00000000ABF4: 0A38382F
	v_mul_f32_e32 v29, s47, v29                                // 00000000ABF8: 0A3A3A2F
	v_cvt_pkrtz_f16_f32 v85, v28, v29                          // 00000000ABFC: D2960055 00023B1C
	v_accvgpr_read_b32 v28, a236                               // 00000000AC04: D3D8401C 180001EC
	v_accvgpr_read_b32 v29, a237                               // 00000000AC0C: D3D8401D 180001ED
	v_mul_f32_e32 v28, s47, v28                                // 00000000AC14: 0A38382F
	v_mul_f32_e32 v29, s47, v29                                // 00000000AC18: 0A3A3A2F
	v_cvt_pkrtz_f16_f32 v86, v28, v29                          // 00000000AC1C: D2960056 00023B1C
	v_accvgpr_read_b32 v28, a238                               // 00000000AC24: D3D8401C 180001EE
	v_accvgpr_read_b32 v29, a239                               // 00000000AC2C: D3D8401D 180001EF
	v_mul_f32_e32 v28, s47, v28                                // 00000000AC34: 0A38382F
	v_mul_f32_e32 v29, s47, v29                                // 00000000AC38: 0A3A3A2F
	v_cvt_pkrtz_f16_f32 v87, v28, v29                          // 00000000AC3C: D2960057 00023B1C
	v_accvgpr_read_b32 v28, a240                               // 00000000AC44: D3D8401C 180001F0
	v_accvgpr_read_b32 v29, a241                               // 00000000AC4C: D3D8401D 180001F1
	v_mul_f32_e32 v28, s47, v28                                // 00000000AC54: 0A38382F
	v_mul_f32_e32 v29, s47, v29                                // 00000000AC58: 0A3A3A2F
	v_cvt_pkrtz_f16_f32 v88, v28, v29                          // 00000000AC5C: D2960058 00023B1C
	v_accvgpr_read_b32 v28, a242                               // 00000000AC64: D3D8401C 180001F2
	v_accvgpr_read_b32 v29, a243                               // 00000000AC6C: D3D8401D 180001F3
	v_mul_f32_e32 v28, s47, v28                                // 00000000AC74: 0A38382F
	v_mul_f32_e32 v29, s47, v29                                // 00000000AC78: 0A3A3A2F
	v_cvt_pkrtz_f16_f32 v89, v28, v29                          // 00000000AC7C: D2960059 00023B1C
	v_accvgpr_read_b32 v28, a244                               // 00000000AC84: D3D8401C 180001F4
	v_accvgpr_read_b32 v29, a245                               // 00000000AC8C: D3D8401D 180001F5
	v_mul_f32_e32 v28, s47, v28                                // 00000000AC94: 0A38382F
	v_mul_f32_e32 v29, s47, v29                                // 00000000AC98: 0A3A3A2F
	v_cvt_pkrtz_f16_f32 v90, v28, v29                          // 00000000AC9C: D296005A 00023B1C
	v_accvgpr_read_b32 v28, a246                               // 00000000ACA4: D3D8401C 180001F6
	v_accvgpr_read_b32 v29, a247                               // 00000000ACAC: D3D8401D 180001F7
	v_mul_f32_e32 v28, s47, v28                                // 00000000ACB4: 0A38382F
	v_mul_f32_e32 v29, s47, v29                                // 00000000ACB8: 0A3A3A2F
	v_cvt_pkrtz_f16_f32 v91, v28, v29                          // 00000000ACBC: D296005B 00023B1C
	v_accvgpr_read_b32 v28, a248                               // 00000000ACC4: D3D8401C 180001F8
	v_accvgpr_read_b32 v29, a249                               // 00000000ACCC: D3D8401D 180001F9
	v_mul_f32_e32 v28, s47, v28                                // 00000000ACD4: 0A38382F
	v_mul_f32_e32 v29, s47, v29                                // 00000000ACD8: 0A3A3A2F
	v_cvt_pkrtz_f16_f32 v92, v28, v29                          // 00000000ACDC: D296005C 00023B1C
	v_accvgpr_read_b32 v28, a250                               // 00000000ACE4: D3D8401C 180001FA
	v_accvgpr_read_b32 v29, a251                               // 00000000ACEC: D3D8401D 180001FB
	v_mul_f32_e32 v28, s47, v28                                // 00000000ACF4: 0A38382F
	v_mul_f32_e32 v29, s47, v29                                // 00000000ACF8: 0A3A3A2F
	v_cvt_pkrtz_f16_f32 v93, v28, v29                          // 00000000ACFC: D296005D 00023B1C
	v_accvgpr_read_b32 v28, a252                               // 00000000AD04: D3D8401C 180001FC
	v_accvgpr_read_b32 v29, a253                               // 00000000AD0C: D3D8401D 180001FD
	v_mul_f32_e32 v28, s47, v28                                // 00000000AD14: 0A38382F
	v_mul_f32_e32 v29, s47, v29                                // 00000000AD18: 0A3A3A2F
	v_cvt_pkrtz_f16_f32 v94, v28, v29                          // 00000000AD1C: D296005E 00023B1C
	v_accvgpr_read_b32 v28, a254                               // 00000000AD24: D3D8401C 180001FE
	v_accvgpr_read_b32 v29, a255                               // 00000000AD2C: D3D8401D 180001FF
	v_mul_f32_e32 v28, s47, v28                                // 00000000AD34: 0A38382F
	v_mul_f32_e32 v29, s47, v29                                // 00000000AD38: 0A3A3A2F
	v_cvt_pkrtz_f16_f32 v95, v28, v29                          // 00000000AD3C: D296005F 00023B1C
	ds_write_b64 v25, v[80:81] offset:33792                    // 00000000AD44: D89A8400 00005019
	ds_write_b64 v25, v[82:83] offset:34320                    // 00000000AD4C: D89A8610 00005219
	ds_write_b64 v25, v[84:85] offset:34848                    // 00000000AD54: D89A8820 00005419
	ds_write_b64 v25, v[86:87] offset:35376                    // 00000000AD5C: D89A8A30 00005619
	ds_write_b64 v25, v[88:89] offset:35904                    // 00000000AD64: D89A8C40 00005819
	ds_write_b64 v25, v[90:91] offset:36432                    // 00000000AD6C: D89A8E50 00005A19
	ds_write_b64 v25, v[92:93] offset:36960                    // 00000000AD74: D89A9060 00005C19
	ds_write_b64 v25, v[94:95] offset:37488                    // 00000000AD7C: D89A9270 00005E19
	s_waitcnt lgkmcnt(0)                                       // 00000000AD84: BF8CC07F
	s_barrier                                                  // 00000000AD88: BF8A0000
	ds_read_b64 v[80:81], v24 offset:33792                     // 00000000AD8C: D8EC8400 50000018
	ds_read_b64 v[82:83], v24 offset:33920                     // 00000000AD94: D8EC8480 52000018
	ds_read_b64 v[84:85], v24 offset:33824                     // 00000000AD9C: D8EC8420 54000018
	ds_read_b64 v[86:87], v24 offset:33952                     // 00000000ADA4: D8EC84A0 56000018
	ds_read_b64 v[88:89], v24 offset:33856                     // 00000000ADAC: D8EC8440 58000018
	ds_read_b64 v[90:91], v24 offset:33984                     // 00000000ADB4: D8EC84C0 5A000018
	ds_read_b64 v[92:93], v24 offset:33888                     // 00000000ADBC: D8EC8460 5C000018
	ds_read_b64 v[94:95], v24 offset:34016                     // 00000000ADC4: D8EC84E0 5E000018
	s_waitcnt lgkmcnt(0)                                       // 00000000ADCC: BF8CC07F
	s_mov_b32 s70, s52                                         // 00000000ADD0: BEC60034
	s_mov_b64 exec, s[88:89]                                   // 00000000ADD4: BEFE0158
	buffer_store_dwordx4 v[80:83], v5, s[36:39], 0 idxen       // 00000000ADD8: E07C2000 80095005
	s_mov_b64 exec, s[84:85]                                   // 00000000ADE0: BEFE0154
	v_add_u32_e32 v5, s70, v5                                  // 00000000ADE4: 680A0A46
	s_mov_b64 exec, s[88:89]                                   // 00000000ADE8: BEFE0158
	buffer_store_dwordx4 v[84:87], v5, s[36:39], 0 idxen       // 00000000ADEC: E07C2000 80095405
	s_mov_b64 exec, s[84:85]                                   // 00000000ADF4: BEFE0154
	v_add_u32_e32 v5, s70, v5                                  // 00000000ADF8: 680A0A46
	s_mov_b64 exec, s[88:89]                                   // 00000000ADFC: BEFE0158
	buffer_store_dwordx4 v[88:91], v5, s[36:39], 0 idxen       // 00000000AE00: E07C2000 80095805
	s_mov_b64 exec, s[84:85]                                   // 00000000AE08: BEFE0154
	v_add_u32_e32 v5, s70, v5                                  // 00000000AE0C: 680A0A46
	s_mov_b64 exec, s[88:89]                                   // 00000000AE10: BEFE0158
	buffer_store_dwordx4 v[92:95], v5, s[36:39], 0 idxen       // 00000000AE14: E07C2000 80095C05
	s_mov_b64 exec, s[84:85]                                   // 00000000AE1C: BEFE0154
	v_add_u32_e32 v5, s70, v5                                  // 00000000AE20: 680A0A46
	s_mul_i32 s60, 12, s70                                     // 00000000AE24: 923C468C
	v_add_u32_e32 v5, s60, v5                                  // 00000000AE28: 680A0A3C
	s_barrier                                                  // 00000000AE2C: BF8A0000
	s_cmp_ge_i32 3, s73                                        // 00000000AE30: BF034983
	s_cbranch_scc1 label_1C26                                  // 00000000AE34: BF850000

000000000000ae38 <label_1C26>:
	v_mov_b32_e32 v28, v152                                    // 00000000AE38: 7E380398
	v_mov_b32_e32 v29, v153                                    // 00000000AE3C: 7E3A0399
	v_cvt_pkrtz_f16_f32 v152, v28, v29                         // 00000000AE40: D2960098 00023B1C
	v_mov_b32_e32 v28, v154                                    // 00000000AE48: 7E38039A
	v_mov_b32_e32 v29, v155                                    // 00000000AE4C: 7E3A039B
	v_cvt_pkrtz_f16_f32 v153, v28, v29                         // 00000000AE50: D2960099 00023B1C
	v_mov_b32_e32 v28, v156                                    // 00000000AE58: 7E38039C
	v_mov_b32_e32 v29, v157                                    // 00000000AE5C: 7E3A039D
	v_cvt_pkrtz_f16_f32 v154, v28, v29                         // 00000000AE60: D296009A 00023B1C
	v_mov_b32_e32 v28, v158                                    // 00000000AE68: 7E38039E
	v_mov_b32_e32 v29, v159                                    // 00000000AE6C: 7E3A039F
	v_cvt_pkrtz_f16_f32 v155, v28, v29                         // 00000000AE70: D296009B 00023B1C
	v_mov_b32_e32 v28, v160                                    // 00000000AE78: 7E3803A0
	v_mov_b32_e32 v29, v161                                    // 00000000AE7C: 7E3A03A1
	v_cvt_pkrtz_f16_f32 v156, v28, v29                         // 00000000AE80: D296009C 00023B1C
	v_mov_b32_e32 v28, v162                                    // 00000000AE88: 7E3803A2
	v_mov_b32_e32 v29, v163                                    // 00000000AE8C: 7E3A03A3
	v_cvt_pkrtz_f16_f32 v157, v28, v29                         // 00000000AE90: D296009D 00023B1C
	v_mov_b32_e32 v28, v164                                    // 00000000AE98: 7E3803A4
	v_mov_b32_e32 v29, v165                                    // 00000000AE9C: 7E3A03A5
	v_cvt_pkrtz_f16_f32 v158, v28, v29                         // 00000000AEA0: D296009E 00023B1C
	v_mov_b32_e32 v28, v166                                    // 00000000AEA8: 7E3803A6
	v_mov_b32_e32 v29, v167                                    // 00000000AEAC: 7E3A03A7
	v_cvt_pkrtz_f16_f32 v159, v28, v29                         // 00000000AEB0: D296009F 00023B1C
	v_mov_b32_e32 v28, v168                                    // 00000000AEB8: 7E3803A8
	v_mov_b32_e32 v29, v169                                    // 00000000AEBC: 7E3A03A9
	v_cvt_pkrtz_f16_f32 v160, v28, v29                         // 00000000AEC0: D29600A0 00023B1C
	v_mov_b32_e32 v28, v170                                    // 00000000AEC8: 7E3803AA
	v_mov_b32_e32 v29, v171                                    // 00000000AECC: 7E3A03AB
	v_cvt_pkrtz_f16_f32 v161, v28, v29                         // 00000000AED0: D29600A1 00023B1C
	v_mov_b32_e32 v28, v172                                    // 00000000AED8: 7E3803AC
	v_mov_b32_e32 v29, v173                                    // 00000000AEDC: 7E3A03AD
	v_cvt_pkrtz_f16_f32 v162, v28, v29                         // 00000000AEE0: D29600A2 00023B1C
	v_mov_b32_e32 v28, v174                                    // 00000000AEE8: 7E3803AE
	v_mov_b32_e32 v29, v175                                    // 00000000AEEC: 7E3A03AF
	v_cvt_pkrtz_f16_f32 v163, v28, v29                         // 00000000AEF0: D29600A3 00023B1C
	v_mov_b32_e32 v28, v176                                    // 00000000AEF8: 7E3803B0
	v_mov_b32_e32 v29, v177                                    // 00000000AEFC: 7E3A03B1
	v_cvt_pkrtz_f16_f32 v164, v28, v29                         // 00000000AF00: D29600A4 00023B1C
	v_mov_b32_e32 v28, v178                                    // 00000000AF08: 7E3803B2
	v_mov_b32_e32 v29, v179                                    // 00000000AF0C: 7E3A03B3
	v_cvt_pkrtz_f16_f32 v165, v28, v29                         // 00000000AF10: D29600A5 00023B1C
	v_mov_b32_e32 v28, v180                                    // 00000000AF18: 7E3803B4
	v_mov_b32_e32 v29, v181                                    // 00000000AF1C: 7E3A03B5
	v_cvt_pkrtz_f16_f32 v166, v28, v29                         // 00000000AF20: D29600A6 00023B1C
	v_mov_b32_e32 v28, v182                                    // 00000000AF28: 7E3803B6
	v_mov_b32_e32 v29, v183                                    // 00000000AF2C: 7E3A03B7
	v_cvt_pkrtz_f16_f32 v167, v28, v29                         // 00000000AF30: D29600A7 00023B1C
	ds_write_b64 v25, v[152:153]                               // 00000000AF38: D89A0000 00009819
	ds_write_b64 v25, v[154:155] offset:528                    // 00000000AF40: D89A0210 00009A19
	ds_write_b64 v25, v[156:157] offset:1056                   // 00000000AF48: D89A0420 00009C19
	ds_write_b64 v25, v[158:159] offset:1584                   // 00000000AF50: D89A0630 00009E19
	ds_write_b64 v25, v[160:161] offset:2112                   // 00000000AF58: D89A0840 0000A019
	ds_write_b64 v25, v[162:163] offset:2640                   // 00000000AF60: D89A0A50 0000A219
	ds_write_b64 v25, v[164:165] offset:3168                   // 00000000AF68: D89A0C60 0000A419
	ds_write_b64 v25, v[166:167] offset:3696                   // 00000000AF70: D89A0E70 0000A619
	s_waitcnt lgkmcnt(0)                                       // 00000000AF78: BF8CC07F
	s_barrier                                                  // 00000000AF7C: BF8A0000
	ds_read_b64 v[152:153], v24                                // 00000000AF80: D8EC0000 98000018
	ds_read_b64 v[154:155], v24 offset:128                     // 00000000AF88: D8EC0080 9A000018
	ds_read_b64 v[156:157], v24 offset:32                      // 00000000AF90: D8EC0020 9C000018
	ds_read_b64 v[158:159], v24 offset:160                     // 00000000AF98: D8EC00A0 9E000018
	ds_read_b64 v[160:161], v24 offset:64                      // 00000000AFA0: D8EC0040 A0000018
	ds_read_b64 v[162:163], v24 offset:192                     // 00000000AFA8: D8EC00C0 A2000018
	ds_read_b64 v[164:165], v24 offset:96                      // 00000000AFB0: D8EC0060 A4000018
	ds_read_b64 v[166:167], v24 offset:224                     // 00000000AFB8: D8EC00E0 A6000018
	s_waitcnt lgkmcnt(0)                                       // 00000000AFC0: BF8CC07F
	s_mov_b32 s70, s53                                         // 00000000AFC4: BEC60035
	s_mov_b64 exec, s[88:89]                                   // 00000000AFC8: BEFE0158
	buffer_store_dwordx4 v[152:155], v6, s[40:43], 0 idxen     // 00000000AFCC: E07C2000 800A9806
	s_mov_b64 exec, s[84:85]                                   // 00000000AFD4: BEFE0154
	v_add_u32_e32 v6, s70, v6                                  // 00000000AFD8: 680C0C46
	s_mov_b64 exec, s[88:89]                                   // 00000000AFDC: BEFE0158
	buffer_store_dwordx4 v[156:159], v6, s[40:43], 0 idxen     // 00000000AFE0: E07C2000 800A9C06
	s_mov_b64 exec, s[84:85]                                   // 00000000AFE8: BEFE0154
	v_add_u32_e32 v6, s70, v6                                  // 00000000AFEC: 680C0C46
	s_mov_b64 exec, s[88:89]                                   // 00000000AFF0: BEFE0158
	buffer_store_dwordx4 v[160:163], v6, s[40:43], 0 idxen     // 00000000AFF4: E07C2000 800AA006
	s_mov_b64 exec, s[84:85]                                   // 00000000AFFC: BEFE0154
	v_add_u32_e32 v6, s70, v6                                  // 00000000B000: 680C0C46
	s_mov_b64 exec, s[88:89]                                   // 00000000B004: BEFE0158
	buffer_store_dwordx4 v[164:167], v6, s[40:43], 0 idxen     // 00000000B008: E07C2000 800AA406
	s_mov_b64 exec, s[84:85]                                   // 00000000B010: BEFE0154
	v_add_u32_e32 v6, s70, v6                                  // 00000000B014: 680C0C46
	s_mul_i32 s60, 12, s70                                     // 00000000B018: 923C468C
	v_add_u32_e32 v6, s60, v6                                  // 00000000B01C: 680C0C3C
	s_cmp_ge_i32 1, s73                                        // 00000000B020: BF034981
	s_cbranch_scc1 label_1D9A                                  // 00000000B024: BF8500F8
	v_mov_b32_e32 v28, v184                                    // 00000000B028: 7E3803B8
	v_mov_b32_e32 v29, v185                                    // 00000000B02C: 7E3A03B9
	v_cvt_pkrtz_f16_f32 v168, v28, v29                         // 00000000B030: D29600A8 00023B1C
	v_mov_b32_e32 v28, v186                                    // 00000000B038: 7E3803BA
	v_mov_b32_e32 v29, v187                                    // 00000000B03C: 7E3A03BB
	v_cvt_pkrtz_f16_f32 v169, v28, v29                         // 00000000B040: D29600A9 00023B1C
	v_mov_b32_e32 v28, v188                                    // 00000000B048: 7E3803BC
	v_mov_b32_e32 v29, v189                                    // 00000000B04C: 7E3A03BD
	v_cvt_pkrtz_f16_f32 v170, v28, v29                         // 00000000B050: D29600AA 00023B1C
	v_mov_b32_e32 v28, v190                                    // 00000000B058: 7E3803BE
	v_mov_b32_e32 v29, v191                                    // 00000000B05C: 7E3A03BF
	v_cvt_pkrtz_f16_f32 v171, v28, v29                         // 00000000B060: D29600AB 00023B1C
	v_mov_b32_e32 v28, v192                                    // 00000000B068: 7E3803C0
	v_mov_b32_e32 v29, v193                                    // 00000000B06C: 7E3A03C1
	v_cvt_pkrtz_f16_f32 v172, v28, v29                         // 00000000B070: D29600AC 00023B1C
	v_mov_b32_e32 v28, v194                                    // 00000000B078: 7E3803C2
	v_mov_b32_e32 v29, v195                                    // 00000000B07C: 7E3A03C3
	v_cvt_pkrtz_f16_f32 v173, v28, v29                         // 00000000B080: D29600AD 00023B1C
	v_mov_b32_e32 v28, v196                                    // 00000000B088: 7E3803C4
	v_mov_b32_e32 v29, v197                                    // 00000000B08C: 7E3A03C5
	v_cvt_pkrtz_f16_f32 v174, v28, v29                         // 00000000B090: D29600AE 00023B1C
	v_mov_b32_e32 v28, v198                                    // 00000000B098: 7E3803C6
	v_mov_b32_e32 v29, v199                                    // 00000000B09C: 7E3A03C7
	v_cvt_pkrtz_f16_f32 v175, v28, v29                         // 00000000B0A0: D29600AF 00023B1C
	v_mov_b32_e32 v28, v200                                    // 00000000B0A8: 7E3803C8
	v_mov_b32_e32 v29, v201                                    // 00000000B0AC: 7E3A03C9
	v_cvt_pkrtz_f16_f32 v176, v28, v29                         // 00000000B0B0: D29600B0 00023B1C
	v_mov_b32_e32 v28, v202                                    // 00000000B0B8: 7E3803CA
	v_mov_b32_e32 v29, v203                                    // 00000000B0BC: 7E3A03CB
	v_cvt_pkrtz_f16_f32 v177, v28, v29                         // 00000000B0C0: D29600B1 00023B1C
	v_mov_b32_e32 v28, v204                                    // 00000000B0C8: 7E3803CC
	v_mov_b32_e32 v29, v205                                    // 00000000B0CC: 7E3A03CD
	v_cvt_pkrtz_f16_f32 v178, v28, v29                         // 00000000B0D0: D29600B2 00023B1C
	v_mov_b32_e32 v28, v206                                    // 00000000B0D8: 7E3803CE
	v_mov_b32_e32 v29, v207                                    // 00000000B0DC: 7E3A03CF
	v_cvt_pkrtz_f16_f32 v179, v28, v29                         // 00000000B0E0: D29600B3 00023B1C
	v_mov_b32_e32 v28, v208                                    // 00000000B0E8: 7E3803D0
	v_mov_b32_e32 v29, v209                                    // 00000000B0EC: 7E3A03D1
	v_cvt_pkrtz_f16_f32 v180, v28, v29                         // 00000000B0F0: D29600B4 00023B1C
	v_mov_b32_e32 v28, v210                                    // 00000000B0F8: 7E3803D2
	v_mov_b32_e32 v29, v211                                    // 00000000B0FC: 7E3A03D3
	v_cvt_pkrtz_f16_f32 v181, v28, v29                         // 00000000B100: D29600B5 00023B1C
	v_mov_b32_e32 v28, v212                                    // 00000000B108: 7E3803D4
	v_mov_b32_e32 v29, v213                                    // 00000000B10C: 7E3A03D5
	v_cvt_pkrtz_f16_f32 v182, v28, v29                         // 00000000B110: D29600B6 00023B1C
	v_mov_b32_e32 v28, v214                                    // 00000000B118: 7E3803D6
	v_mov_b32_e32 v29, v215                                    // 00000000B11C: 7E3A03D7
	v_cvt_pkrtz_f16_f32 v183, v28, v29                         // 00000000B120: D29600B7 00023B1C
	ds_write_b64 v25, v[168:169] offset:16896                  // 00000000B128: D89A4200 0000A819
	ds_write_b64 v25, v[170:171] offset:17424                  // 00000000B130: D89A4410 0000AA19
	ds_write_b64 v25, v[172:173] offset:17952                  // 00000000B138: D89A4620 0000AC19
	ds_write_b64 v25, v[174:175] offset:18480                  // 00000000B140: D89A4830 0000AE19
	ds_write_b64 v25, v[176:177] offset:19008                  // 00000000B148: D89A4A40 0000B019
	ds_write_b64 v25, v[178:179] offset:19536                  // 00000000B150: D89A4C50 0000B219
	ds_write_b64 v25, v[180:181] offset:20064                  // 00000000B158: D89A4E60 0000B419
	ds_write_b64 v25, v[182:183] offset:20592                  // 00000000B160: D89A5070 0000B619
	s_waitcnt lgkmcnt(0)                                       // 00000000B168: BF8CC07F
	s_barrier                                                  // 00000000B16C: BF8A0000
	ds_read_b64 v[168:169], v24 offset:16896                   // 00000000B170: D8EC4200 A8000018
	ds_read_b64 v[170:171], v24 offset:17024                   // 00000000B178: D8EC4280 AA000018
	ds_read_b64 v[172:173], v24 offset:16928                   // 00000000B180: D8EC4220 AC000018
	ds_read_b64 v[174:175], v24 offset:17056                   // 00000000B188: D8EC42A0 AE000018
	ds_read_b64 v[176:177], v24 offset:16960                   // 00000000B190: D8EC4240 B0000018
	ds_read_b64 v[178:179], v24 offset:17088                   // 00000000B198: D8EC42C0 B2000018
	ds_read_b64 v[180:181], v24 offset:16992                   // 00000000B1A0: D8EC4260 B4000018
	ds_read_b64 v[182:183], v24 offset:17120                   // 00000000B1A8: D8EC42E0 B6000018
	s_waitcnt lgkmcnt(0)                                       // 00000000B1B0: BF8CC07F
	s_mov_b32 s70, s53                                         // 00000000B1B4: BEC60035
	s_mov_b64 exec, s[88:89]                                   // 00000000B1B8: BEFE0158
	buffer_store_dwordx4 v[168:171], v6, s[40:43], 0 idxen     // 00000000B1BC: E07C2000 800AA806
	s_mov_b64 exec, s[84:85]                                   // 00000000B1C4: BEFE0154
	v_add_u32_e32 v6, s70, v6                                  // 00000000B1C8: 680C0C46
	s_mov_b64 exec, s[88:89]                                   // 00000000B1CC: BEFE0158
	buffer_store_dwordx4 v[172:175], v6, s[40:43], 0 idxen     // 00000000B1D0: E07C2000 800AAC06
	s_mov_b64 exec, s[84:85]                                   // 00000000B1D8: BEFE0154
	v_add_u32_e32 v6, s70, v6                                  // 00000000B1DC: 680C0C46
	s_mov_b64 exec, s[88:89]                                   // 00000000B1E0: BEFE0158
	buffer_store_dwordx4 v[176:179], v6, s[40:43], 0 idxen     // 00000000B1E4: E07C2000 800AB006
	s_mov_b64 exec, s[84:85]                                   // 00000000B1EC: BEFE0154
	v_add_u32_e32 v6, s70, v6                                  // 00000000B1F0: 680C0C46
	s_mov_b64 exec, s[88:89]                                   // 00000000B1F4: BEFE0158
	buffer_store_dwordx4 v[180:183], v6, s[40:43], 0 idxen     // 00000000B1F8: E07C2000 800AB406
	s_mov_b64 exec, s[84:85]                                   // 00000000B200: BEFE0154
	v_add_u32_e32 v6, s70, v6                                  // 00000000B204: 680C0C46
	s_mul_i32 s60, 12, s70                                     // 00000000B208: 923C468C
	v_add_u32_e32 v6, s60, v6                                  // 00000000B20C: 680C0C3C
	s_cmp_ge_i32 2, s73                                        // 00000000B210: BF034982
	s_cbranch_scc1 label_1D9A                                  // 00000000B214: BF85007C
	v_mov_b32_e32 v28, v216                                    // 00000000B218: 7E3803D8
	v_mov_b32_e32 v29, v217                                    // 00000000B21C: 7E3A03D9
	v_cvt_pkrtz_f16_f32 v184, v28, v29                         // 00000000B220: D29600B8 00023B1C
	v_mov_b32_e32 v28, v218                                    // 00000000B228: 7E3803DA
	v_mov_b32_e32 v29, v219                                    // 00000000B22C: 7E3A03DB
	v_cvt_pkrtz_f16_f32 v185, v28, v29                         // 00000000B230: D29600B9 00023B1C
	v_mov_b32_e32 v28, v220                                    // 00000000B238: 7E3803DC
	v_mov_b32_e32 v29, v221                                    // 00000000B23C: 7E3A03DD
	v_cvt_pkrtz_f16_f32 v186, v28, v29                         // 00000000B240: D29600BA 00023B1C
	v_mov_b32_e32 v28, v222                                    // 00000000B248: 7E3803DE
	v_mov_b32_e32 v29, v223                                    // 00000000B24C: 7E3A03DF
	v_cvt_pkrtz_f16_f32 v187, v28, v29                         // 00000000B250: D29600BB 00023B1C
	v_mov_b32_e32 v28, v224                                    // 00000000B258: 7E3803E0
	v_mov_b32_e32 v29, v225                                    // 00000000B25C: 7E3A03E1
	v_cvt_pkrtz_f16_f32 v188, v28, v29                         // 00000000B260: D29600BC 00023B1C
	v_mov_b32_e32 v28, v226                                    // 00000000B268: 7E3803E2
	v_mov_b32_e32 v29, v227                                    // 00000000B26C: 7E3A03E3
	v_cvt_pkrtz_f16_f32 v189, v28, v29                         // 00000000B270: D29600BD 00023B1C
	v_mov_b32_e32 v28, v228                                    // 00000000B278: 7E3803E4
	v_mov_b32_e32 v29, v229                                    // 00000000B27C: 7E3A03E5
	v_cvt_pkrtz_f16_f32 v190, v28, v29                         // 00000000B280: D29600BE 00023B1C
	v_mov_b32_e32 v28, v230                                    // 00000000B288: 7E3803E6
	v_mov_b32_e32 v29, v231                                    // 00000000B28C: 7E3A03E7
	v_cvt_pkrtz_f16_f32 v191, v28, v29                         // 00000000B290: D29600BF 00023B1C
	v_mov_b32_e32 v28, v232                                    // 00000000B298: 7E3803E8
	v_mov_b32_e32 v29, v233                                    // 00000000B29C: 7E3A03E9
	v_cvt_pkrtz_f16_f32 v192, v28, v29                         // 00000000B2A0: D29600C0 00023B1C
	v_mov_b32_e32 v28, v234                                    // 00000000B2A8: 7E3803EA
	v_mov_b32_e32 v29, v235                                    // 00000000B2AC: 7E3A03EB
	v_cvt_pkrtz_f16_f32 v193, v28, v29                         // 00000000B2B0: D29600C1 00023B1C
	v_mov_b32_e32 v28, v236                                    // 00000000B2B8: 7E3803EC
	v_mov_b32_e32 v29, v237                                    // 00000000B2BC: 7E3A03ED
	v_cvt_pkrtz_f16_f32 v194, v28, v29                         // 00000000B2C0: D29600C2 00023B1C
	v_mov_b32_e32 v28, v238                                    // 00000000B2C8: 7E3803EE
	v_mov_b32_e32 v29, v239                                    // 00000000B2CC: 7E3A03EF
	v_cvt_pkrtz_f16_f32 v195, v28, v29                         // 00000000B2D0: D29600C3 00023B1C
	v_mov_b32_e32 v28, v240                                    // 00000000B2D8: 7E3803F0
	v_mov_b32_e32 v29, v241                                    // 00000000B2DC: 7E3A03F1
	v_cvt_pkrtz_f16_f32 v196, v28, v29                         // 00000000B2E0: D29600C4 00023B1C
	v_mov_b32_e32 v28, v242                                    // 00000000B2E8: 7E3803F2
	v_mov_b32_e32 v29, v243                                    // 00000000B2EC: 7E3A03F3
	v_cvt_pkrtz_f16_f32 v197, v28, v29                         // 00000000B2F0: D29600C5 00023B1C
	v_mov_b32_e32 v28, v244                                    // 00000000B2F8: 7E3803F4
	v_mov_b32_e32 v29, v245                                    // 00000000B2FC: 7E3A03F5
	v_cvt_pkrtz_f16_f32 v198, v28, v29                         // 00000000B300: D29600C6 00023B1C
	v_mov_b32_e32 v28, v246                                    // 00000000B308: 7E3803F6
	v_mov_b32_e32 v29, v247                                    // 00000000B30C: 7E3A03F7
	v_cvt_pkrtz_f16_f32 v199, v28, v29                         // 00000000B310: D29600C7 00023B1C
	ds_write_b64 v25, v[184:185] offset:33792                  // 00000000B318: D89A8400 0000B819
	ds_write_b64 v25, v[186:187] offset:34320                  // 00000000B320: D89A8610 0000BA19
	ds_write_b64 v25, v[188:189] offset:34848                  // 00000000B328: D89A8820 0000BC19
	ds_write_b64 v25, v[190:191] offset:35376                  // 00000000B330: D89A8A30 0000BE19
	ds_write_b64 v25, v[192:193] offset:35904                  // 00000000B338: D89A8C40 0000C019
	ds_write_b64 v25, v[194:195] offset:36432                  // 00000000B340: D89A8E50 0000C219
	ds_write_b64 v25, v[196:197] offset:36960                  // 00000000B348: D89A9060 0000C419
	ds_write_b64 v25, v[198:199] offset:37488                  // 00000000B350: D89A9270 0000C619
	s_waitcnt lgkmcnt(0)                                       // 00000000B358: BF8CC07F
	s_barrier                                                  // 00000000B35C: BF8A0000
	ds_read_b64 v[184:185], v24 offset:33792                   // 00000000B360: D8EC8400 B8000018
	ds_read_b64 v[186:187], v24 offset:33920                   // 00000000B368: D8EC8480 BA000018
	ds_read_b64 v[188:189], v24 offset:33824                   // 00000000B370: D8EC8420 BC000018
	ds_read_b64 v[190:191], v24 offset:33952                   // 00000000B378: D8EC84A0 BE000018
	ds_read_b64 v[192:193], v24 offset:33856                   // 00000000B380: D8EC8440 C0000018
	ds_read_b64 v[194:195], v24 offset:33984                   // 00000000B388: D8EC84C0 C2000018
	ds_read_b64 v[196:197], v24 offset:33888                   // 00000000B390: D8EC8460 C4000018
	ds_read_b64 v[198:199], v24 offset:34016                   // 00000000B398: D8EC84E0 C6000018
	s_waitcnt lgkmcnt(0)                                       // 00000000B3A0: BF8CC07F
	s_mov_b32 s70, s53                                         // 00000000B3A4: BEC60035
	s_mov_b64 exec, s[88:89]                                   // 00000000B3A8: BEFE0158
	buffer_store_dwordx4 v[184:187], v6, s[40:43], 0 idxen     // 00000000B3AC: E07C2000 800AB806
	s_mov_b64 exec, s[84:85]                                   // 00000000B3B4: BEFE0154
	v_add_u32_e32 v6, s70, v6                                  // 00000000B3B8: 680C0C46
	s_mov_b64 exec, s[88:89]                                   // 00000000B3BC: BEFE0158
	buffer_store_dwordx4 v[188:191], v6, s[40:43], 0 idxen     // 00000000B3C0: E07C2000 800ABC06
	s_mov_b64 exec, s[84:85]                                   // 00000000B3C8: BEFE0154
	v_add_u32_e32 v6, s70, v6                                  // 00000000B3CC: 680C0C46
	s_mov_b64 exec, s[88:89]                                   // 00000000B3D0: BEFE0158
	buffer_store_dwordx4 v[192:195], v6, s[40:43], 0 idxen     // 00000000B3D4: E07C2000 800AC006
	s_mov_b64 exec, s[84:85]                                   // 00000000B3DC: BEFE0154
	v_add_u32_e32 v6, s70, v6                                  // 00000000B3E0: 680C0C46
	s_mov_b64 exec, s[88:89]                                   // 00000000B3E4: BEFE0158
	buffer_store_dwordx4 v[196:199], v6, s[40:43], 0 idxen     // 00000000B3E8: E07C2000 800AC406
	s_mov_b64 exec, s[84:85]                                   // 00000000B3F0: BEFE0154
	v_add_u32_e32 v6, s70, v6                                  // 00000000B3F4: 680C0C46
	s_mul_i32 s60, 12, s70                                     // 00000000B3F8: 923C468C
	v_add_u32_e32 v6, s60, v6                                  // 00000000B3FC: 680C0C3C
	s_cmp_ge_i32 3, s73                                        // 00000000B400: BF034983
	s_cbranch_scc1 label_1D9A                                  // 00000000B404: BF850000

000000000000b408 <label_1D9A>:
	s_waitcnt vmcnt(0) expcnt(0) lgkmcnt(0)                    // 00000000B408: BF8C0000
	s_endpgm                                                   // 00000000B40C: BF810000
